;; amdgpu-corpus repo=ROCm/rocFFT kind=compiled arch=gfx950 opt=O3
	.text
	.amdgcn_target "amdgcn-amd-amdhsa--gfx950"
	.amdhsa_code_object_version 6
	.protected	fft_rtc_back_len1260_factors_2_2_3_3_5_7_wgs_63_tpt_63_halfLds_half_ip_CI_unitstride_sbrr_dirReg ; -- Begin function fft_rtc_back_len1260_factors_2_2_3_3_5_7_wgs_63_tpt_63_halfLds_half_ip_CI_unitstride_sbrr_dirReg
	.globl	fft_rtc_back_len1260_factors_2_2_3_3_5_7_wgs_63_tpt_63_halfLds_half_ip_CI_unitstride_sbrr_dirReg
	.p2align	8
	.type	fft_rtc_back_len1260_factors_2_2_3_3_5_7_wgs_63_tpt_63_halfLds_half_ip_CI_unitstride_sbrr_dirReg,@function
fft_rtc_back_len1260_factors_2_2_3_3_5_7_wgs_63_tpt_63_halfLds_half_ip_CI_unitstride_sbrr_dirReg: ; @fft_rtc_back_len1260_factors_2_2_3_3_5_7_wgs_63_tpt_63_halfLds_half_ip_CI_unitstride_sbrr_dirReg
; %bb.0:
	s_load_dwordx2 s[8:9], s[0:1], 0x50
	s_load_dwordx4 s[4:7], s[0:1], 0x0
	s_load_dwordx2 s[10:11], s[0:1], 0x18
	v_mul_u32_u24_e32 v1, 0x411, v0
	v_add_u32_sdwa v6, s2, v1 dst_sel:DWORD dst_unused:UNUSED_PAD src0_sel:DWORD src1_sel:WORD_1
	v_mov_b32_e32 v4, 0
	s_waitcnt lgkmcnt(0)
	v_cmp_lt_u64_e64 s[2:3], s[6:7], 2
	v_mov_b32_e32 v7, v4
	s_and_b64 vcc, exec, s[2:3]
	v_mov_b64_e32 v[2:3], 0
	s_cbranch_vccnz .LBB0_8
; %bb.1:
	s_load_dwordx2 s[2:3], s[0:1], 0x10
	s_add_u32 s12, s10, 8
	s_addc_u32 s13, s11, 0
	s_mov_b64 s[14:15], 1
	v_mov_b64_e32 v[2:3], 0
	s_waitcnt lgkmcnt(0)
	s_add_u32 s16, s2, 8
	s_addc_u32 s17, s3, 0
.LBB0_2:                                ; =>This Inner Loop Header: Depth=1
	s_load_dwordx2 s[18:19], s[16:17], 0x0
                                        ; implicit-def: $vgpr8_vgpr9
	s_waitcnt lgkmcnt(0)
	v_or_b32_e32 v5, s19, v7
	v_cmp_ne_u64_e32 vcc, 0, v[4:5]
	s_and_saveexec_b64 s[2:3], vcc
	s_xor_b64 s[20:21], exec, s[2:3]
	s_cbranch_execz .LBB0_4
; %bb.3:                                ;   in Loop: Header=BB0_2 Depth=1
	v_cvt_f32_u32_e32 v1, s18
	v_cvt_f32_u32_e32 v5, s19
	s_sub_u32 s2, 0, s18
	s_subb_u32 s3, 0, s19
	v_fmac_f32_e32 v1, 0x4f800000, v5
	v_rcp_f32_e32 v1, v1
	s_nop 0
	v_mul_f32_e32 v1, 0x5f7ffffc, v1
	v_mul_f32_e32 v5, 0x2f800000, v1
	v_trunc_f32_e32 v5, v5
	v_fmac_f32_e32 v1, 0xcf800000, v5
	v_cvt_u32_f32_e32 v5, v5
	v_cvt_u32_f32_e32 v1, v1
	v_mul_lo_u32 v8, s2, v5
	v_mul_hi_u32 v10, s2, v1
	v_mul_lo_u32 v9, s3, v1
	v_add_u32_e32 v10, v10, v8
	v_mul_lo_u32 v12, s2, v1
	v_add_u32_e32 v13, v10, v9
	v_mul_hi_u32 v8, v1, v12
	v_mul_hi_u32 v11, v1, v13
	v_mul_lo_u32 v10, v1, v13
	v_mov_b32_e32 v9, v4
	v_lshl_add_u64 v[8:9], v[8:9], 0, v[10:11]
	v_mul_hi_u32 v11, v5, v12
	v_mul_lo_u32 v12, v5, v12
	v_add_co_u32_e32 v8, vcc, v8, v12
	v_mul_hi_u32 v10, v5, v13
	s_nop 0
	v_addc_co_u32_e32 v8, vcc, v9, v11, vcc
	v_mov_b32_e32 v9, v4
	s_nop 0
	v_addc_co_u32_e32 v11, vcc, 0, v10, vcc
	v_mul_lo_u32 v10, v5, v13
	v_lshl_add_u64 v[8:9], v[8:9], 0, v[10:11]
	v_add_co_u32_e32 v1, vcc, v1, v8
	v_mul_lo_u32 v10, s2, v1
	s_nop 0
	v_addc_co_u32_e32 v5, vcc, v5, v9, vcc
	v_mul_lo_u32 v8, s2, v5
	v_mul_hi_u32 v9, s2, v1
	v_add_u32_e32 v8, v9, v8
	v_mul_lo_u32 v9, s3, v1
	v_add_u32_e32 v12, v8, v9
	v_mul_hi_u32 v14, v5, v10
	v_mul_lo_u32 v15, v5, v10
	v_mul_hi_u32 v9, v1, v12
	v_mul_lo_u32 v8, v1, v12
	v_mul_hi_u32 v10, v1, v10
	v_mov_b32_e32 v11, v4
	v_lshl_add_u64 v[8:9], v[10:11], 0, v[8:9]
	v_add_co_u32_e32 v8, vcc, v8, v15
	v_mul_hi_u32 v13, v5, v12
	s_nop 0
	v_addc_co_u32_e32 v8, vcc, v9, v14, vcc
	v_mul_lo_u32 v10, v5, v12
	s_nop 0
	v_addc_co_u32_e32 v11, vcc, 0, v13, vcc
	v_mov_b32_e32 v9, v4
	v_lshl_add_u64 v[8:9], v[8:9], 0, v[10:11]
	v_add_co_u32_e32 v1, vcc, v1, v8
	v_mul_hi_u32 v10, v6, v1
	s_nop 0
	v_addc_co_u32_e32 v5, vcc, v5, v9, vcc
	v_mad_u64_u32 v[8:9], s[2:3], v6, v5, 0
	v_mov_b32_e32 v11, v4
	v_lshl_add_u64 v[8:9], v[10:11], 0, v[8:9]
	v_mad_u64_u32 v[12:13], s[2:3], v7, v1, 0
	v_add_co_u32_e32 v1, vcc, v8, v12
	v_mad_u64_u32 v[10:11], s[2:3], v7, v5, 0
	s_nop 0
	v_addc_co_u32_e32 v8, vcc, v9, v13, vcc
	v_mov_b32_e32 v9, v4
	s_nop 0
	v_addc_co_u32_e32 v11, vcc, 0, v11, vcc
	v_lshl_add_u64 v[8:9], v[8:9], 0, v[10:11]
	v_mul_lo_u32 v1, s19, v8
	v_mul_lo_u32 v5, s18, v9
	v_mad_u64_u32 v[10:11], s[2:3], s18, v8, 0
	v_add3_u32 v1, v11, v5, v1
	v_sub_u32_e32 v5, v7, v1
	v_mov_b32_e32 v11, s19
	v_sub_co_u32_e32 v14, vcc, v6, v10
	v_lshl_add_u64 v[12:13], v[8:9], 0, 1
	s_nop 0
	v_subb_co_u32_e64 v5, s[2:3], v5, v11, vcc
	v_subrev_co_u32_e64 v10, s[2:3], s18, v14
	v_subb_co_u32_e32 v1, vcc, v7, v1, vcc
	s_nop 0
	v_subbrev_co_u32_e64 v5, s[2:3], 0, v5, s[2:3]
	v_cmp_le_u32_e64 s[2:3], s19, v5
	v_cmp_le_u32_e32 vcc, s19, v1
	s_nop 0
	v_cndmask_b32_e64 v11, 0, -1, s[2:3]
	v_cmp_le_u32_e64 s[2:3], s18, v10
	s_nop 1
	v_cndmask_b32_e64 v10, 0, -1, s[2:3]
	v_cmp_eq_u32_e64 s[2:3], s19, v5
	s_nop 1
	v_cndmask_b32_e64 v5, v11, v10, s[2:3]
	v_lshl_add_u64 v[10:11], v[8:9], 0, 2
	v_cmp_ne_u32_e64 s[2:3], 0, v5
	s_nop 1
	v_cndmask_b32_e64 v5, v13, v11, s[2:3]
	v_cndmask_b32_e64 v11, 0, -1, vcc
	v_cmp_le_u32_e32 vcc, s18, v14
	s_nop 1
	v_cndmask_b32_e64 v13, 0, -1, vcc
	v_cmp_eq_u32_e32 vcc, s19, v1
	s_nop 1
	v_cndmask_b32_e32 v1, v11, v13, vcc
	v_cmp_ne_u32_e32 vcc, 0, v1
	v_cndmask_b32_e64 v1, v12, v10, s[2:3]
	s_nop 0
	v_cndmask_b32_e32 v9, v9, v5, vcc
	v_cndmask_b32_e32 v8, v8, v1, vcc
.LBB0_4:                                ;   in Loop: Header=BB0_2 Depth=1
	s_andn2_saveexec_b64 s[2:3], s[20:21]
	s_cbranch_execz .LBB0_6
; %bb.5:                                ;   in Loop: Header=BB0_2 Depth=1
	v_cvt_f32_u32_e32 v1, s18
	s_sub_i32 s20, 0, s18
	v_rcp_iflag_f32_e32 v1, v1
	s_nop 0
	v_mul_f32_e32 v1, 0x4f7ffffe, v1
	v_cvt_u32_f32_e32 v1, v1
	v_mul_lo_u32 v5, s20, v1
	v_mul_hi_u32 v5, v1, v5
	v_add_u32_e32 v1, v1, v5
	v_mul_hi_u32 v1, v6, v1
	v_mul_lo_u32 v5, v1, s18
	v_sub_u32_e32 v5, v6, v5
	v_add_u32_e32 v8, 1, v1
	v_subrev_u32_e32 v9, s18, v5
	v_cmp_le_u32_e32 vcc, s18, v5
	s_nop 1
	v_cndmask_b32_e32 v5, v5, v9, vcc
	v_cndmask_b32_e32 v1, v1, v8, vcc
	v_add_u32_e32 v8, 1, v1
	v_cmp_le_u32_e32 vcc, s18, v5
	v_mov_b32_e32 v9, v4
	s_nop 0
	v_cndmask_b32_e32 v8, v1, v8, vcc
.LBB0_6:                                ;   in Loop: Header=BB0_2 Depth=1
	s_or_b64 exec, exec, s[2:3]
	v_mad_u64_u32 v[10:11], s[2:3], v8, s18, 0
	s_load_dwordx2 s[2:3], s[12:13], 0x0
	v_mul_lo_u32 v1, v9, s18
	v_mul_lo_u32 v5, v8, s19
	v_add3_u32 v1, v11, v5, v1
	v_sub_co_u32_e32 v5, vcc, v6, v10
	s_add_u32 s14, s14, 1
	s_nop 0
	v_subb_co_u32_e32 v1, vcc, v7, v1, vcc
	s_addc_u32 s15, s15, 0
	s_waitcnt lgkmcnt(0)
	v_mul_lo_u32 v1, s2, v1
	v_mul_lo_u32 v6, s3, v5
	v_mad_u64_u32 v[2:3], s[2:3], s2, v5, v[2:3]
	s_add_u32 s12, s12, 8
	v_add3_u32 v3, v6, v3, v1
	s_addc_u32 s13, s13, 0
	v_mov_b64_e32 v[6:7], s[6:7]
	s_add_u32 s16, s16, 8
	v_cmp_ge_u64_e32 vcc, s[14:15], v[6:7]
	s_addc_u32 s17, s17, 0
	s_cbranch_vccnz .LBB0_9
; %bb.7:                                ;   in Loop: Header=BB0_2 Depth=1
	v_mov_b64_e32 v[6:7], v[8:9]
	s_branch .LBB0_2
.LBB0_8:
	v_mov_b64_e32 v[8:9], v[6:7]
.LBB0_9:
	s_lshl_b64 s[2:3], s[6:7], 3
	s_add_u32 s2, s10, s2
	s_addc_u32 s3, s11, s3
	s_load_dwordx2 s[6:7], s[2:3], 0x0
	s_load_dwordx2 s[10:11], s[0:1], 0x20
	v_mov_b32_e32 v28, 0
	v_mov_b32_e32 v26, 0
	;; [unrolled: 1-line block ×3, first 2 shown]
	s_waitcnt lgkmcnt(0)
	v_mad_u64_u32 v[2:3], s[0:1], s6, v8, v[2:3]
	v_mul_lo_u32 v1, s6, v9
	v_mul_lo_u32 v4, s7, v8
	s_mov_b32 s0, 0x4104105
	v_add3_u32 v3, v4, v3, v1
	v_mul_hi_u32 v1, v0, s0
	v_mul_u32_u24_e32 v1, 63, v1
	v_cmp_gt_u64_e32 vcc, s[10:11], v[8:9]
	v_sub_u32_e32 v0, v0, v1
	v_mov_b32_e32 v9, 0
	v_lshl_add_u64 v[2:3], v[2:3], 2, s[8:9]
	v_mov_b32_e32 v21, 0
	v_mov_b32_e32 v15, 0
	;; [unrolled: 1-line block ×6, first 2 shown]
                                        ; implicit-def: $vgpr14
                                        ; implicit-def: $vgpr1
                                        ; implicit-def: $vgpr39
                                        ; implicit-def: $vgpr4
                                        ; implicit-def: $vgpr37
                                        ; implicit-def: $vgpr5
                                        ; implicit-def: $vgpr30
                                        ; implicit-def: $vgpr6
                                        ; implicit-def: $vgpr31
                                        ; implicit-def: $vgpr7
                                        ; implicit-def: $vgpr32
                                        ; implicit-def: $vgpr8
                                        ; implicit-def: $vgpr33
                                        ; implicit-def: $vgpr13
                                        ; implicit-def: $vgpr34
                                        ; implicit-def: $vgpr11
                                        ; implicit-def: $vgpr35
                                        ; implicit-def: $vgpr10
                                        ; implicit-def: $vgpr38
                                        ; implicit-def: $vgpr12
	s_and_saveexec_b64 s[2:3], vcc
	s_cbranch_execz .LBB0_11
; %bb.10:
	v_mov_b32_e32 v1, 0
	v_lshl_add_u64 v[16:17], v[0:1], 2, v[2:3]
	s_movk_i32 s0, 0x1000
	v_add_co_u32_e64 v18, s[0:1], s0, v16
	global_load_dword v1, v[16:17], off offset:2520
	global_load_dword v4, v[16:17], off offset:2772
	;; [unrolled: 1-line block ×6, first 2 shown]
	global_load_dword v9, v[16:17], off
	global_load_dword v28, v[16:17], off offset:252
	global_load_dword v26, v[16:17], off offset:504
	;; [unrolled: 1-line block ×7, first 2 shown]
	v_addc_co_u32_e64 v19, s[0:1], 0, v17, s[0:1]
	global_load_dword v29, v[16:17], off offset:2016
	global_load_dword v13, v[16:17], off offset:4032
	global_load_dword v11, v[18:19], off offset:188
	global_load_dword v10, v[18:19], off offset:440
	global_load_dword v12, v[18:19], off offset:692
	global_load_dword v36, v[16:17], off offset:2268
	s_waitcnt vmcnt(19)
	v_lshrrev_b32_e32 v14, 16, v1
	s_waitcnt vmcnt(18)
	v_lshrrev_b32_e32 v39, 16, v4
	;; [unrolled: 2-line block ×10, first 2 shown]
.LBB0_11:
	s_or_b64 exec, exec, s[2:3]
	v_sub_f16_e32 v1, v9, v1
	v_lshrrev_b32_e32 v16, 16, v9
	v_fma_f16 v9, v9, 2.0, -v1
	v_sub_f16_e32 v4, v28, v4
	v_lshl_add_u32 v47, v0, 2, 0
	v_pack_b32_f16 v1, v9, v1
	v_sub_f16_e32 v24, v16, v14
	v_fma_f16 v14, v28, 2.0, -v4
	ds_write_b32 v47, v1
	v_add_u32_e32 v1, 63, v0
	v_sub_f16_e32 v5, v26, v5
	v_lshl_add_u32 v48, v1, 2, 0
	v_pack_b32_f16 v4, v14, v4
	v_fma_f16 v40, v16, 2.0, -v24
	v_fma_f16 v16, v26, 2.0, -v5
	v_sub_f16_e32 v17, v23, v6
	ds_write_b32 v48, v4
	v_add_u32_e32 v4, 0x7e, v0
	v_fma_f16 v18, v23, 2.0, -v17
	v_sub_f16_e32 v7, v21, v7
	v_lshl_add_u32 v49, v4, 2, 0
	v_pack_b32_f16 v5, v16, v5
	v_add_u32_e32 v6, 0xbd, v0
	v_fma_f16 v19, v21, 2.0, -v7
	v_sub_f16_e32 v20, v15, v8
	ds_write_b32 v49, v5
	v_lshl_add_u32 v50, v6, 2, 0
	v_pack_b32_f16 v5, v18, v17
	v_add_u32_e32 v9, 0xfc, v0
	v_fma_f16 v22, v15, 2.0, -v20
	v_sub_f16_e32 v13, v25, v13
	v_sub_f16_e32 v44, v29, v10
	ds_write_b32 v50, v5
	v_add_u32_e32 v8, 0x13b, v0
	v_lshl_add_u32 v10, v9, 2, 0
	v_pack_b32_f16 v5, v19, v7
	v_fma_f16 v41, v25, 2.0, -v13
	v_sub_f16_e32 v42, v27, v11
	ds_write_b32 v10, v5
	v_lshl_add_u32 v11, v8, 2, 0
	v_pack_b32_f16 v5, v22, v20
	v_add_u32_e32 v7, 0x17a, v0
	v_fma_f16 v43, v27, 2.0, -v42
	ds_write_b32 v11, v5
	v_lshl_add_u32 v51, v7, 2, 0
	v_pack_b32_f16 v5, v41, v13
	v_add_u32_e32 v41, 0x1b9, v0
	v_fma_f16 v45, v29, 2.0, -v44
	s_waitcnt vmcnt(0)
	v_sub_f16_e32 v12, v36, v12
	ds_write_b32 v51, v5
	v_lshl_add_u32 v52, v41, 2, 0
	v_pack_b32_f16 v5, v43, v42
	v_add_u32_e32 v42, 0x1f8, v0
	v_lshrrev_b32_e32 v28, 16, v28
	v_fma_f16 v46, v36, 2.0, -v12
	ds_write_b32 v52, v5
	v_lshl_add_u32 v43, v42, 2, 0
	v_pack_b32_f16 v5, v45, v44
	v_add_u32_e32 v44, 0x237, v0
	v_sub_f16_e32 v39, v28, v39
	v_lshlrev_b32_e32 v68, 1, v0
	ds_write_b32 v43, v5
	v_lshl_add_u32 v45, v44, 2, 0
	v_pack_b32_f16 v5, v46, v12
	v_fma_f16 v28, v28, 2.0, -v39
	v_lshlrev_b32_e32 v79, 1, v9
	v_lshlrev_b32_e32 v81, 1, v8
	ds_write_b32 v45, v5
	v_add_u32_e32 v5, 0, v68
	v_pack_b32_f16 v28, v28, v39
	v_lshrrev_b32_e32 v26, 16, v26
	s_waitcnt lgkmcnt(0)
	; wave barrier
	s_waitcnt lgkmcnt(0)
	v_sub_u32_e32 v80, v10, v79
	v_sub_u32_e32 v82, v11, v81
	ds_read_u16 v22, v5 offset:1260
	ds_read_u16 v20, v5 offset:1386
	;; [unrolled: 1-line block ×9, first 2 shown]
	v_pack_b32_f16 v40, v40, v24
	ds_read_u16 v55, v5
	ds_read_u16 v70, v5 offset:126
	ds_read_u16 v71, v5 offset:252
	;; [unrolled: 1-line block ×7, first 2 shown]
	ds_read_u16 v74, v82
	ds_read_u16 v73, v80
	ds_read_u16 v24, v5 offset:2394
	s_waitcnt lgkmcnt(0)
	; wave barrier
	s_waitcnt lgkmcnt(0)
	ds_write_b32 v48, v28
	v_sub_f16_e32 v28, v26, v37
	v_fma_f16 v26, v26, 2.0, -v28
	v_lshrrev_b32_e32 v23, 16, v23
	v_lshrrev_b32_e32 v21, 16, v21
	v_lshrrev_b32_e32 v15, 16, v15
	v_pack_b32_f16 v26, v26, v28
	v_sub_f16_e32 v28, v23, v30
	v_sub_f16_e32 v30, v21, v31
	;; [unrolled: 1-line block ×3, first 2 shown]
	v_lshrrev_b32_e32 v25, 16, v25
	v_fma_f16 v23, v23, 2.0, -v28
	v_fma_f16 v21, v21, 2.0, -v30
	;; [unrolled: 1-line block ×3, first 2 shown]
	v_sub_f16_e32 v32, v25, v33
	v_lshrrev_b32_e32 v27, 16, v27
	v_fma_f16 v25, v25, 2.0, -v32
	v_sub_f16_e32 v33, v27, v34
	v_lshrrev_b32_e32 v29, 16, v29
	v_pack_b32_f16 v23, v23, v28
	v_pack_b32_f16 v21, v21, v30
	;; [unrolled: 1-line block ×3, first 2 shown]
	ds_write_b32 v47, v40
	v_fma_f16 v27, v27, 2.0, -v33
	v_sub_f16_e32 v34, v29, v35
	v_lshrrev_b32_e32 v35, 16, v36
	ds_write_b32 v49, v26
	ds_write_b32 v50, v23
	;; [unrolled: 1-line block ×4, first 2 shown]
	v_pack_b32_f16 v15, v25, v32
	v_fma_f16 v29, v29, 2.0, -v34
	v_sub_f16_e32 v36, v35, v38
	ds_write_b32 v51, v15
	v_pack_b32_f16 v15, v27, v33
	v_fma_f16 v35, v35, 2.0, -v36
	ds_write_b32 v52, v15
	v_pack_b32_f16 v15, v29, v34
	ds_write_b32 v43, v15
	v_pack_b32_f16 v15, v35, v36
	ds_write_b32 v45, v15
	v_and_b32_e32 v15, 1, v0
	v_lshlrev_b32_e32 v21, 2, v15
	s_waitcnt lgkmcnt(0)
	; wave barrier
	s_waitcnt lgkmcnt(0)
	global_load_dword v26, v21, s[4:5]
	v_and_b32_e32 v21, 1, v1
	v_lshlrev_b32_e32 v23, 2, v21
	global_load_dword v28, v23, s[4:5]
	v_and_b32_e32 v23, 1, v6
	v_lshlrev_b32_e32 v25, 2, v23
	;; [unrolled: 3-line block ×4, first 2 shown]
	v_and_b32_e32 v30, 1, v44
	ds_read_u16 v54, v5 offset:1260
	ds_read_u16 v53, v5 offset:1386
	;; [unrolled: 1-line block ×8, first 2 shown]
	v_lshlrev_b32_e32 v31, 2, v30
	global_load_dword v60, v29, s[4:5]
	global_load_dword v58, v31, s[4:5]
	s_movk_i32 s0, 0x7c
	v_and_or_b32 v32, v68, s0, v15
	v_lshl_add_u32 v68, v32, 1, 0
	s_movk_i32 s0, 0xfc
	s_movk_i32 s1, 0x2fc
	v_and_or_b32 v25, v81, s1, v25
                                        ; implicit-def: $vgpr39
	s_waitcnt vmcnt(5) lgkmcnt(7)
	v_mul_f16_sdwa v29, v54, v26 dst_sel:DWORD dst_unused:UNUSED_PAD src0_sel:DWORD src1_sel:WORD_1
	v_fma_f16 v29, v22, v26, v29
	v_sub_f16_e32 v29, v55, v29
	v_fma_f16 v31, v55, 2.0, -v29
	ds_read_u16 v67, v5 offset:2268
	ds_read_u16 v65, v5
	ds_read_u16 v64, v5 offset:126
	ds_read_u16 v62, v5 offset:252
	;; [unrolled: 1-line block ×7, first 2 shown]
	ds_read_u16 v63, v82
	ds_read_u16 v66, v80
	ds_read_u16 v69, v5 offset:2394
	s_waitcnt lgkmcnt(0)
	; wave barrier
	s_waitcnt lgkmcnt(0)
	ds_write_b16 v68, v31
	ds_write_b16 v68, v29 offset:4
	v_lshlrev_b32_e32 v29, 1, v1
	v_and_or_b32 v21, v29, s0, v21
	s_waitcnt vmcnt(4)
	v_mul_f16_sdwa v29, v53, v28 dst_sel:DWORD dst_unused:UNUSED_PAD src0_sel:DWORD src1_sel:WORD_1
	v_fma_f16 v29, v20, v28, v29
	v_sub_f16_e32 v29, v70, v29
	v_fma_f16 v31, v70, 2.0, -v29
	v_lshl_add_u32 v70, v21, 1, 0
	v_mul_f16_sdwa v21, v52, v26 dst_sel:DWORD dst_unused:UNUSED_PAD src0_sel:DWORD src1_sel:WORD_1
	ds_write_b16 v70, v31
	ds_write_b16 v70, v29 offset:4
	v_fma_f16 v21, v19, v26, v21
	s_movk_i32 s0, 0x1fc
	v_lshlrev_b32_e32 v31, 1, v4
	v_sub_f16_e32 v21, v71, v21
	v_and_or_b32 v31, v31, s0, v15
	v_fma_f16 v29, v71, 2.0, -v21
	v_lshl_add_u32 v71, v31, 1, 0
	ds_write_b16 v71, v29
	ds_write_b16 v71, v21 offset:4
	v_lshlrev_b32_e32 v21, 1, v6
	v_and_or_b32 v21, v21, s0, v23
	s_waitcnt vmcnt(3)
	v_mul_f16_sdwa v23, v51, v45 dst_sel:DWORD dst_unused:UNUSED_PAD src0_sel:DWORD src1_sel:WORD_1
	v_fma_f16 v23, v18, v45, v23
	v_sub_f16_e32 v23, v72, v23
	v_fma_f16 v29, v72, 2.0, -v23
	v_lshl_add_u32 v72, v21, 1, 0
	v_mul_f16_sdwa v21, v50, v26 dst_sel:DWORD dst_unused:UNUSED_PAD src0_sel:DWORD src1_sel:WORD_1
	v_fma_f16 v21, v17, v26, v21
	s_movk_i32 s0, 0x3fc
	ds_write_b16 v72, v29
	ds_write_b16 v72, v23 offset:4
	v_sub_f16_e32 v21, v73, v21
	v_and_or_b32 v29, v79, s0, v15
	v_fma_f16 v23, v73, 2.0, -v21
	v_lshl_add_u32 v73, v29, 1, 0
	ds_write_b16 v73, v23
	ds_write_b16 v73, v21 offset:4
	s_waitcnt vmcnt(2)
	v_mul_f16_sdwa v21, v49, v46 dst_sel:DWORD dst_unused:UNUSED_PAD src0_sel:DWORD src1_sel:WORD_1
	v_fma_f16 v21, v12, v46, v21
	v_sub_f16_e32 v21, v74, v21
	v_fma_f16 v23, v74, 2.0, -v21
	v_lshl_add_u32 v74, v25, 1, 0
	ds_write_b16 v74, v23
	ds_write_b16 v74, v21 offset:4
	v_mul_f16_sdwa v21, v48, v26 dst_sel:DWORD dst_unused:UNUSED_PAD src0_sel:DWORD src1_sel:WORD_1
	v_fma_f16 v21, v13, v26, v21
	v_lshlrev_b32_e32 v25, 1, v7
	v_sub_f16_e32 v21, v75, v21
	v_and_or_b32 v25, v25, s0, v15
	v_fma_f16 v23, v75, 2.0, -v21
	v_lshl_add_u32 v75, v25, 1, 0
	ds_write_b16 v75, v23
	ds_write_b16 v75, v21 offset:4
	s_waitcnt vmcnt(1)
	v_mul_f16_sdwa v23, v47, v60 dst_sel:DWORD dst_unused:UNUSED_PAD src0_sel:DWORD src1_sel:WORD_1
	v_lshlrev_b32_e32 v21, 1, v41
	v_fma_f16 v23, v14, v60, v23
	v_and_or_b32 v21, v21, s0, v27
	v_sub_f16_e32 v23, v76, v23
	v_fma_f16 v25, v76, 2.0, -v23
	v_lshl_add_u32 v76, v21, 1, 0
	v_lshlrev_b32_e32 v21, 1, v42
	s_movk_i32 s0, 0x7fc
	v_and_or_b32 v15, v21, s0, v15
	v_mul_f16_sdwa v21, v67, v26 dst_sel:DWORD dst_unused:UNUSED_PAD src0_sel:DWORD src1_sel:WORD_1
	v_fma_f16 v21, v16, v26, v21
	v_sub_f16_e32 v21, v77, v21
	ds_write_b16 v76, v25
	ds_write_b16 v76, v23 offset:4
	v_fma_f16 v23, v77, 2.0, -v21
	v_lshl_add_u32 v77, v15, 1, 0
	v_lshlrev_b32_e32 v15, 1, v44
	s_movk_i32 s0, 0x4fc
	ds_write_b16 v77, v23
	ds_write_b16 v77, v21 offset:4
	v_and_or_b32 v21, v15, s0, v30
	s_waitcnt vmcnt(0)
	v_mul_f16_sdwa v15, v69, v58 dst_sel:DWORD dst_unused:UNUSED_PAD src0_sel:DWORD src1_sel:WORD_1
	v_fma_f16 v15, v24, v58, v15
	v_sub_f16_e32 v25, v78, v15
	v_fma_f16 v15, v78, 2.0, -v25
	v_lshl_add_u32 v78, v21, 1, 0
	ds_write_b16 v78, v15
	ds_write_b16 v78, v25 offset:4
	s_waitcnt lgkmcnt(0)
	; wave barrier
	s_waitcnt lgkmcnt(0)
	ds_read_u16 v23, v80
	ds_read_u16 v21, v82
	;; [unrolled: 1-line block ×3, first 2 shown]
	ds_read_u16 v30, v5 offset:126
	ds_read_u16 v29, v5 offset:252
	;; [unrolled: 1-line block ×15, first 2 shown]
	v_sub_u32_e32 v80, 0, v79
	v_sub_u32_e32 v79, 0, v81
	v_cmp_gt_u32_e64 s[0:1], 42, v0
	s_and_saveexec_b64 s[2:3], s[0:1]
	s_cbranch_execz .LBB0_13
; %bb.12:
	ds_read_u16 v15, v5 offset:756
	ds_read_u16 v25, v5 offset:1596
	;; [unrolled: 1-line block ×3, first 2 shown]
.LBB0_13:
	s_or_b64 exec, exec, s[2:3]
	v_mul_f16_sdwa v22, v22, v26 dst_sel:DWORD dst_unused:UNUSED_PAD src0_sel:DWORD src1_sel:WORD_1
	v_mul_f16_sdwa v19, v19, v26 dst_sel:DWORD dst_unused:UNUSED_PAD src0_sel:DWORD src1_sel:WORD_1
	;; [unrolled: 1-line block ×8, first 2 shown]
	v_fma_f16 v22, v54, v26, -v22
	v_mul_f16_sdwa v20, v20, v28 dst_sel:DWORD dst_unused:UNUSED_PAD src0_sel:DWORD src1_sel:WORD_1
	v_fma_f16 v19, v52, v26, -v19
	v_fma_f16 v18, v51, v45, -v18
	v_fma_f16 v17, v50, v26, -v17
	v_fma_f16 v12, v49, v46, -v12
	v_fma_f16 v13, v48, v26, -v13
	v_fma_f16 v14, v47, v60, -v14
	v_fma_f16 v16, v67, v26, -v16
	v_mul_f16_sdwa v24, v24, v58 dst_sel:DWORD dst_unused:UNUSED_PAD src0_sel:DWORD src1_sel:WORD_1
	v_fma_f16 v20, v53, v28, -v20
	v_fma_f16 v24, v69, v58, -v24
	v_sub_f16_e32 v22, v65, v22
	v_sub_f16_e32 v19, v62, v19
	;; [unrolled: 1-line block ×8, first 2 shown]
	v_fma_f16 v26, v65, 2.0, -v22
	v_sub_f16_e32 v20, v64, v20
	v_fma_f16 v45, v62, 2.0, -v19
	v_fma_f16 v46, v61, 2.0, -v18
	;; [unrolled: 1-line block ×7, first 2 shown]
	v_sub_f16_e32 v16, v55, v24
	v_add_u32_e32 v10, v10, v80
	v_fma_f16 v28, v64, 2.0, -v20
	v_fma_f16 v14, v55, 2.0, -v16
	s_waitcnt lgkmcnt(0)
	; wave barrier
	s_waitcnt lgkmcnt(0)
	ds_write_b16 v68, v26
	ds_write_b16 v68, v22 offset:4
	ds_write_b16 v70, v28
	ds_write_b16 v70, v20 offset:4
	;; [unrolled: 2-line block ×10, first 2 shown]
	s_waitcnt lgkmcnt(0)
	; wave barrier
	s_waitcnt lgkmcnt(0)
	ds_read_u16 v26, v5
	ds_read_u16 v22, v5 offset:126
	ds_read_u16 v18, v5 offset:252
	;; [unrolled: 1-line block ×8, first 2 shown]
	v_add_u32_e32 v13, v11, v79
	ds_read_u16 v20, v10
	ds_read_u16 v12, v13
	ds_read_u16 v52, v5 offset:1806
	ds_read_u16 v51, v5 offset:1932
	;; [unrolled: 1-line block ×7, first 2 shown]
                                        ; implicit-def: $vgpr69
	s_and_saveexec_b64 s[2:3], s[0:1]
	s_cbranch_execz .LBB0_15
; %bb.14:
	ds_read_u16 v14, v5 offset:756
	ds_read_u16 v16, v5 offset:1596
	;; [unrolled: 1-line block ×3, first 2 shown]
.LBB0_15:
	s_or_b64 exec, exec, s[2:3]
	v_and_b32_e32 v80, 3, v0
	v_lshlrev_b32_e32 v28, 3, v80
	v_and_b32_e32 v81, 3, v1
	global_load_dwordx2 v[70:71], v28, s[4:5] offset:8
	v_lshlrev_b32_e32 v28, 3, v81
	v_and_b32_e32 v82, 3, v4
	global_load_dwordx2 v[54:55], v28, s[4:5] offset:8
	;; [unrolled: 3-line block ×4, first 2 shown]
	v_lshlrev_b32_e32 v28, 3, v84
	global_load_dwordx2 v[76:77], v28, s[4:5] offset:8
	v_and_b32_e32 v28, 3, v7
	v_lshlrev_b32_e32 v56, 3, v28
	global_load_dwordx2 v[78:79], v56, s[4:5] offset:8
	s_mov_b32 s2, 0xbaee
	s_movk_i32 s3, 0x3aee
	s_waitcnt lgkmcnt(0)
	; wave barrier
	s_waitcnt vmcnt(5) lgkmcnt(0)
	v_mul_f16_sdwa v56, v49, v70 dst_sel:DWORD dst_unused:UNUSED_PAD src0_sel:DWORD src1_sel:WORD_1
	v_mul_f16_sdwa v58, v53, v71 dst_sel:DWORD dst_unused:UNUSED_PAD src0_sel:DWORD src1_sel:WORD_1
	;; [unrolled: 1-line block ×4, first 2 shown]
	s_waitcnt vmcnt(4)
	v_mul_f16_sdwa v60, v46, v54 dst_sel:DWORD dst_unused:UNUSED_PAD src0_sel:DWORD src1_sel:WORD_1
	v_mul_f16_sdwa v61, v41, v54 dst_sel:DWORD dst_unused:UNUSED_PAD src0_sel:DWORD src1_sel:WORD_1
	;; [unrolled: 1-line block ×4, first 2 shown]
	v_fma_f16 v64, v42, v70, v56
	v_fma_f16 v66, v44, v71, v58
	v_mul_f16_sdwa v65, v43, v55 dst_sel:DWORD dst_unused:UNUSED_PAD src0_sel:DWORD src1_sel:WORD_1
	s_waitcnt vmcnt(1)
	v_mul_f16_sdwa v98, v37, v76 dst_sel:DWORD dst_unused:UNUSED_PAD src0_sel:DWORD src1_sel:WORD_1
	v_mul_f16_sdwa v100, v32, v77 dst_sel:DWORD dst_unused:UNUSED_PAD src0_sel:DWORD src1_sel:WORD_1
	;; [unrolled: 1-line block ×3, first 2 shown]
	s_waitcnt vmcnt(0)
	v_mul_f16_sdwa v102, v25, v78 dst_sel:DWORD dst_unused:UNUSED_PAD src0_sel:DWORD src1_sel:WORD_1
	v_mul_f16_sdwa v94, v34, v70 dst_sel:DWORD dst_unused:UNUSED_PAD src0_sel:DWORD src1_sel:WORD_1
	;; [unrolled: 1-line block ×6, first 2 shown]
	v_fma_f16 v67, v49, v70, -v57
	v_fma_f16 v68, v53, v71, -v59
	v_fma_f16 v59, v41, v54, v60
	v_fma_f16 v63, v46, v54, -v61
	v_fma_f16 v61, v43, v55, v62
	v_fma_f16 v54, v48, v71, -v96
	v_fma_f16 v48, v50, v76, -v98
	;; [unrolled: 1-line block ×4, first 2 shown]
	v_add_f16_e32 v11, v31, v64
	v_add_f16_e32 v16, v64, v66
	v_mul_f16_sdwa v85, v24, v72 dst_sel:DWORD dst_unused:UNUSED_PAD src0_sel:DWORD src1_sel:WORD_1
	v_mul_f16_sdwa v89, v17, v74 dst_sel:DWORD dst_unused:UNUSED_PAD src0_sel:DWORD src1_sel:WORD_1
	v_mul_f16_sdwa v93, v45, v70 dst_sel:DWORD dst_unused:UNUSED_PAD src0_sel:DWORD src1_sel:WORD_1
	v_fma_f16 v65, v52, v55, -v65
	v_fma_f16 v56, v17, v74, -v90
	;; [unrolled: 1-line block ×3, first 2 shown]
	v_fma_f16 v45, v32, v77, v99
	v_fma_f16 v41, v25, v78, v101
	v_sub_f16_e32 v17, v67, v68
	v_add_f16_e32 v25, v59, v61
	v_add_f16_e32 v32, v11, v66
	v_fma_f16 v11, v16, -0.5, v31
	v_mul_f16_sdwa v86, v36, v72 dst_sel:DWORD dst_unused:UNUSED_PAD src0_sel:DWORD src1_sel:WORD_1
	v_mul_f16_sdwa v87, v51, v73 dst_sel:DWORD dst_unused:UNUSED_PAD src0_sel:DWORD src1_sel:WORD_1
	v_fma_f16 v55, v36, v72, v85
	v_fma_f16 v16, v25, -0.5, v30
	v_fma_f16 v25, v17, s2, v11
	v_fma_f16 v17, v17, s3, v11
	v_sub_f16_e32 v11, v63, v65
	v_mul_f16_sdwa v88, v40, v73 dst_sel:DWORD dst_unused:UNUSED_PAD src0_sel:DWORD src1_sel:WORD_1
	v_fma_f16 v60, v24, v72, -v86
	v_fma_f16 v57, v40, v73, v87
	v_add_f16_e32 v24, v30, v59
	v_fma_f16 v30, v11, s2, v16
	v_fma_f16 v31, v11, s3, v16
	v_add_f16_e32 v11, v29, v55
	v_fma_f16 v62, v51, v73, -v88
	v_fma_f16 v51, v33, v74, v89
	v_add_f16_e32 v33, v11, v57
	v_add_f16_e32 v11, v55, v57
	v_mul_f16_sdwa v91, v47, v75 dst_sel:DWORD dst_unused:UNUSED_PAD src0_sel:DWORD src1_sel:WORD_1
	v_mul_f16_sdwa v92, v38, v75 dst_sel:DWORD dst_unused:UNUSED_PAD src0_sel:DWORD src1_sel:WORD_1
	v_fma_f16 v11, v11, -0.5, v29
	v_sub_f16_e32 v16, v60, v62
	v_fma_f16 v53, v38, v75, v91
	v_fma_f16 v58, v47, v75, -v92
	v_fma_f16 v47, v34, v70, v93
	v_fma_f16 v29, v16, s2, v11
	;; [unrolled: 1-line block ×3, first 2 shown]
	v_add_f16_e32 v11, v27, v51
	v_fma_f16 v49, v35, v71, v95
	v_add_f16_e32 v35, v11, v53
	v_add_f16_e32 v11, v51, v53
	v_fma_f16 v11, v11, -0.5, v27
	v_sub_f16_e32 v16, v56, v58
	v_fma_f16 v27, v16, s2, v11
	v_fma_f16 v36, v16, s3, v11
	v_add_f16_e32 v11, v23, v47
	v_fma_f16 v43, v37, v76, v97
	v_add_f16_e32 v37, v11, v49
	v_add_f16_e32 v11, v47, v49
	v_fma_f16 v11, v11, -0.5, v23
	v_sub_f16_e32 v16, v52, v54
	v_mul_f16_sdwa v103, v69, v79 dst_sel:DWORD dst_unused:UNUSED_PAD src0_sel:DWORD src1_sel:WORD_1
	v_fma_f16 v23, v16, s2, v11
	v_fma_f16 v38, v16, s3, v11
	v_add_f16_e32 v11, v21, v43
	v_mul_f16_sdwa v104, v39, v79 dst_sel:DWORD dst_unused:UNUSED_PAD src0_sel:DWORD src1_sel:WORD_1
	v_fma_f16 v42, v39, v79, v103
	v_add_f16_e32 v39, v11, v45
	v_add_f16_e32 v11, v43, v45
	v_fma_f16 v11, v11, -0.5, v21
	v_sub_f16_e32 v16, v48, v50
	v_fma_f16 v46, v69, v79, -v104
	v_fma_f16 v21, v16, s2, v11
	v_fma_f16 v40, v16, s3, v11
	v_add_f16_e32 v16, v41, v42
	v_add_f16_e32 v11, v15, v41
	v_fma_f16 v15, v16, -0.5, v15
	v_sub_f16_e32 v69, v44, v46
	v_fma_f16 v16, v69, s2, v15
	v_fma_f16 v15, v69, s3, v15
	v_lshrrev_b32_e32 v69, 2, v0
	v_mul_u32_u24_e32 v69, 12, v69
	v_or_b32_e32 v69, v69, v80
	v_lshl_add_u32 v69, v69, 1, 0
	ds_write_b16 v69, v32
	ds_write_b16 v69, v25 offset:8
	ds_write_b16 v69, v17 offset:16
	v_lshrrev_b32_e32 v17, 2, v1
	v_mul_u32_u24_e32 v17, 12, v17
	v_or_b32_e32 v17, v17, v81
	v_lshl_add_u32 v70, v17, 1, 0
	v_lshrrev_b32_e32 v17, 2, v4
	v_mul_u32_u24_e32 v17, 12, v17
	v_or_b32_e32 v17, v17, v82
	v_lshl_add_u32 v71, v17, 1, 0
	;; [unrolled: 4-line block ×4, first 2 shown]
	v_lshrrev_b32_e32 v17, 2, v8
	v_mul_u32_u24_e32 v17, 12, v17
	v_or_b32_e32 v17, v17, v84
	v_add_f16_e32 v24, v24, v61
	v_add_f16_e32 v11, v11, v42
	v_lshl_add_u32 v75, v17, 1, 0
	v_lshrrev_b32_e32 v74, 2, v7
	ds_write_b16 v70, v24
	ds_write_b16 v70, v30 offset:8
	ds_write_b16 v70, v31 offset:16
	ds_write_b16 v71, v33
	ds_write_b16 v71, v29 offset:8
	ds_write_b16 v71, v34 offset:16
	;; [unrolled: 3-line block ×5, first 2 shown]
	s_and_saveexec_b64 s[2:3], s[0:1]
	s_cbranch_execz .LBB0_17
; %bb.16:
	v_mul_u32_u24_e32 v17, 12, v74
	v_or_b32_e32 v17, v17, v28
	v_lshl_add_u32 v17, v17, 1, 0
	ds_write_b16 v17, v11
	ds_write_b16 v17, v16 offset:8
	ds_write_b16 v17, v15 offset:16
.LBB0_17:
	s_or_b64 exec, exec, s[2:3]
	s_waitcnt lgkmcnt(0)
	; wave barrier
	s_waitcnt lgkmcnt(0)
	ds_read_u16 v27, v5
	ds_read_u16 v25, v5 offset:126
	ds_read_u16 v23, v5 offset:252
	;; [unrolled: 1-line block ×8, first 2 shown]
	ds_read_u16 v21, v10
	ds_read_u16 v17, v13
	ds_read_u16 v39, v5 offset:1806
	ds_read_u16 v37, v5 offset:1932
	ds_read_u16 v36, v5 offset:2058
	ds_read_u16 v35, v5 offset:2184
	ds_read_u16 v29, v5 offset:2310
	ds_read_u16 v40, v5 offset:1680
	ds_read_u16 v34, v5 offset:1470
	s_and_saveexec_b64 s[2:3], s[0:1]
	s_cbranch_execz .LBB0_19
; %bb.18:
	ds_read_u16 v11, v5 offset:756
	ds_read_u16 v16, v5 offset:1596
	;; [unrolled: 1-line block ×3, first 2 shown]
.LBB0_19:
	s_or_b64 exec, exec, s[2:3]
	v_add_f16_e32 v76, v26, v67
	v_add_f16_e32 v67, v67, v68
	v_fma_f16 v26, v67, -0.5, v26
	v_sub_f16_e32 v64, v64, v66
	s_movk_i32 s2, 0x3aee
	s_mov_b32 s3, 0xbaee
	v_fma_f16 v66, v64, s2, v26
	v_fma_f16 v64, v64, s3, v26
	v_add_f16_e32 v26, v22, v63
	v_add_f16_e32 v67, v26, v65
	v_add_f16_e32 v26, v63, v65
	v_fma_f16 v22, v26, -0.5, v22
	v_sub_f16_e32 v26, v59, v61
	v_fma_f16 v59, v26, s2, v22
	v_fma_f16 v22, v26, s3, v22
	v_add_f16_e32 v26, v18, v60
	v_add_f16_e32 v61, v26, v62
	v_add_f16_e32 v26, v60, v62
	v_fma_f16 v18, v26, -0.5, v18
	v_sub_f16_e32 v26, v55, v57
	;; [unrolled: 7-line block ×5, first 2 shown]
	v_fma_f16 v43, v26, s2, v12
	v_fma_f16 v45, v26, s3, v12
	v_add_f16_e32 v26, v44, v46
	v_add_f16_e32 v12, v14, v44
	v_fma_f16 v14, v26, -0.5, v14
	v_sub_f16_e32 v26, v41, v42
	v_add_f16_e32 v76, v76, v68
	v_add_f16_e32 v12, v12, v46
	v_fma_f16 v41, v26, s2, v14
	v_fma_f16 v26, v26, s3, v14
	s_waitcnt lgkmcnt(0)
	; wave barrier
	s_waitcnt lgkmcnt(0)
	ds_write_b16 v69, v76
	ds_write_b16 v69, v66 offset:8
	ds_write_b16 v69, v64 offset:16
	ds_write_b16 v70, v67
	ds_write_b16 v70, v59 offset:8
	ds_write_b16 v70, v22 offset:16
	;; [unrolled: 3-line block ×6, first 2 shown]
	s_and_saveexec_b64 s[2:3], s[0:1]
	s_cbranch_execz .LBB0_21
; %bb.20:
	v_mul_u32_u24_e32 v14, 12, v74
	v_or_b32_e32 v14, v14, v28
	v_lshl_add_u32 v14, v14, 1, 0
	ds_write_b16 v14, v12
	ds_write_b16 v14, v41 offset:8
	ds_write_b16 v14, v26 offset:16
.LBB0_21:
	s_or_b64 exec, exec, s[2:3]
	s_waitcnt lgkmcnt(0)
	; wave barrier
	s_waitcnt lgkmcnt(0)
	ds_read_u16 v22, v5
	ds_read_u16 v20, v5 offset:126
	ds_read_u16 v18, v5 offset:252
	;; [unrolled: 1-line block ×8, first 2 shown]
	ds_read_u16 v14, v10
	ds_read_u16 v13, v13
	ds_read_u16 v51, v5 offset:1806
	ds_read_u16 v49, v5 offset:1932
	;; [unrolled: 1-line block ×7, first 2 shown]
	s_and_saveexec_b64 s[2:3], s[0:1]
	s_cbranch_execz .LBB0_23
; %bb.22:
	ds_read_u16 v12, v5 offset:756
	ds_read_u16 v41, v5 offset:1596
	ds_read_u16 v26, v5 offset:2436
.LBB0_23:
	s_or_b64 exec, exec, s[2:3]
	s_movk_i32 s2, 0xab
	v_mul_lo_u16_sdwa v56, v1, s2 dst_sel:DWORD dst_unused:UNUSED_PAD src0_sel:BYTE_0 src1_sel:DWORD
	v_lshrrev_b16_e32 v71, 11, v56
	v_mul_lo_u16_sdwa v53, v0, s2 dst_sel:DWORD dst_unused:UNUSED_PAD src0_sel:BYTE_0 src1_sel:DWORD
	v_mul_lo_u16_e32 v56, 12, v71
	v_lshrrev_b16_e32 v70, 11, v53
	v_sub_u16_e32 v72, v1, v56
	v_mul_lo_u16_sdwa v56, v4, s2 dst_sel:DWORD dst_unused:UNUSED_PAD src0_sel:BYTE_0 src1_sel:DWORD
	v_mul_lo_u16_sdwa v59, v6, s2 dst_sel:DWORD dst_unused:UNUSED_PAD src0_sel:BYTE_0 src1_sel:DWORD
	v_mul_lo_u16_e32 v53, 12, v70
	v_lshrrev_b16_e32 v73, 11, v56
	v_lshrrev_b16_e32 v75, 11, v59
	v_sub_u16_e32 v53, v0, v53
	v_mov_b32_e32 v54, 3
	v_mul_lo_u16_e32 v56, 12, v73
	v_mul_lo_u16_e32 v60, 12, v75
	v_lshlrev_b32_sdwa v55, v54, v53 dst_sel:DWORD dst_unused:UNUSED_PAD src0_sel:DWORD src1_sel:BYTE_0
	v_lshlrev_b32_sdwa v58, v54, v72 dst_sel:DWORD dst_unused:UNUSED_PAD src0_sel:DWORD src1_sel:BYTE_0
	v_sub_u16_e32 v74, v4, v56
	v_sub_u16_e32 v76, v6, v60
	global_load_dwordx2 v[56:57], v55, s[4:5] offset:40
	s_mov_b32 s2, 0xaaab
	global_load_dwordx2 v[58:59], v58, s[4:5] offset:40
	v_lshlrev_b32_sdwa v55, v54, v74 dst_sel:DWORD dst_unused:UNUSED_PAD src0_sel:DWORD src1_sel:BYTE_0
	v_lshlrev_b32_sdwa v54, v54, v76 dst_sel:DWORD dst_unused:UNUSED_PAD src0_sel:DWORD src1_sel:BYTE_0
	global_load_dwordx2 v[60:61], v55, s[4:5] offset:40
	global_load_dwordx2 v[62:63], v54, s[4:5] offset:40
	v_mul_u32_u24_sdwa v54, v9, s2 dst_sel:DWORD dst_unused:UNUSED_PAD src0_sel:WORD_0 src1_sel:DWORD
	v_lshrrev_b32_e32 v77, 19, v54
	v_mul_lo_u16_e32 v54, 12, v77
	v_sub_u16_e32 v9, v9, v54
	v_lshlrev_b32_e32 v54, 3, v9
	global_load_dwordx2 v[64:65], v54, s[4:5] offset:40
	v_mul_u32_u24_sdwa v54, v8, s2 dst_sel:DWORD dst_unused:UNUSED_PAD src0_sel:WORD_0 src1_sel:DWORD
	v_lshrrev_b32_e32 v78, 19, v54
	v_mul_lo_u16_e32 v54, 12, v78
	v_sub_u16_e32 v79, v8, v54
	v_lshlrev_b32_e32 v8, 3, v79
	;; [unrolled: 6-line block ×3, first 2 shown]
	global_load_dwordx2 v[68:69], v7, s[4:5] offset:40
	v_mov_b32_e32 v7, 1
	v_lshlrev_b32_sdwa v82, v7, v53 dst_sel:DWORD dst_unused:UNUSED_PAD src0_sel:DWORD src1_sel:BYTE_0
	v_lshlrev_b32_sdwa v72, v7, v72 dst_sel:DWORD dst_unused:UNUSED_PAD src0_sel:DWORD src1_sel:BYTE_0
	;; [unrolled: 1-line block ×4, first 2 shown]
	v_lshlrev_b32_e32 v83, 1, v9
	s_mov_b32 s6, 0xbaee
	s_movk_i32 s7, 0x3aee
	s_waitcnt lgkmcnt(0)
	; wave barrier
	s_waitcnt lgkmcnt(0)
	s_mov_b32 s3, 0x5040100
	s_movk_i32 s2, 0x48
	s_waitcnt vmcnt(6)
	v_mul_f16_sdwa v7, v50, v56 dst_sel:DWORD dst_unused:UNUSED_PAD src0_sel:DWORD src1_sel:WORD_1
	v_fma_f16 v53, v38, v56, v7
	v_mul_f16_sdwa v8, v38, v56 dst_sel:DWORD dst_unused:UNUSED_PAD src0_sel:DWORD src1_sel:WORD_1
	v_mul_f16_sdwa v9, v52, v57 dst_sel:DWORD dst_unused:UNUSED_PAD src0_sel:DWORD src1_sel:WORD_1
	s_waitcnt vmcnt(4)
	v_mul_f16_sdwa v89, v43, v60 dst_sel:DWORD dst_unused:UNUSED_PAD src0_sel:DWORD src1_sel:WORD_1
	s_waitcnt vmcnt(3)
	v_mul_f16_sdwa v93, v42, v62 dst_sel:DWORD dst_unused:UNUSED_PAD src0_sel:DWORD src1_sel:WORD_1
	v_mul_f16_sdwa v90, v31, v60 dst_sel:DWORD dst_unused:UNUSED_PAD src0_sel:DWORD src1_sel:WORD_1
	;; [unrolled: 1-line block ×3, first 2 shown]
	v_fma_f16 v38, v31, v60, v89
	v_fma_f16 v31, v30, v62, v93
	v_mul_f16_sdwa v85, v45, v58 dst_sel:DWORD dst_unused:UNUSED_PAD src0_sel:DWORD src1_sel:WORD_1
	s_waitcnt vmcnt(2)
	v_mul_f16_sdwa v99, v47, v65 dst_sel:DWORD dst_unused:UNUSED_PAD src0_sel:DWORD src1_sel:WORD_1
	v_mul_f16_sdwa v7, v35, v65 dst_sel:DWORD dst_unused:UNUSED_PAD src0_sel:DWORD src1_sel:WORD_1
	v_fma_f16 v30, v35, v65, v99
	v_fma_f16 v35, v47, v65, -v7
	v_fma_f16 v54, v40, v57, v9
	v_mul_f16_sdwa v86, v33, v58 dst_sel:DWORD dst_unused:UNUSED_PAD src0_sel:DWORD src1_sel:WORD_1
	s_waitcnt vmcnt(1)
	v_mul_f16_sdwa v7, v46, v66 dst_sel:DWORD dst_unused:UNUSED_PAD src0_sel:DWORD src1_sel:WORD_1
	v_fma_f16 v9, v34, v66, v7
	v_mul_f16_sdwa v7, v34, v66 dst_sel:DWORD dst_unused:UNUSED_PAD src0_sel:DWORD src1_sel:WORD_1
	v_fma_f16 v55, v50, v56, -v8
	v_fma_f16 v50, v33, v58, v85
	v_fma_f16 v33, v46, v66, -v7
	v_mul_f16_sdwa v7, v28, v67 dst_sel:DWORD dst_unused:UNUSED_PAD src0_sel:DWORD src1_sel:WORD_1
	v_mul_f16_sdwa v84, v40, v57 dst_sel:DWORD dst_unused:UNUSED_PAD src0_sel:DWORD src1_sel:WORD_1
	;; [unrolled: 1-line block ×4, first 2 shown]
	v_fma_f16 v34, v29, v67, v7
	v_mul_f16_sdwa v7, v29, v67 dst_sel:DWORD dst_unused:UNUSED_PAD src0_sel:DWORD src1_sel:WORD_1
	v_mul_f16_sdwa v88, v39, v59 dst_sel:DWORD dst_unused:UNUSED_PAD src0_sel:DWORD src1_sel:WORD_1
	;; [unrolled: 1-line block ×3, first 2 shown]
	v_fma_f16 v56, v52, v57, -v84
	v_fma_f16 v52, v45, v58, -v86
	v_fma_f16 v45, v39, v59, v87
	v_fma_f16 v39, v37, v61, v91
	v_fma_f16 v37, v42, v62, -v94
	v_fma_f16 v42, v28, v67, -v7
	s_waitcnt vmcnt(0)
	v_mul_f16_sdwa v7, v41, v68 dst_sel:DWORD dst_unused:UNUSED_PAD src0_sel:DWORD src1_sel:WORD_1
	v_fma_f16 v28, v16, v68, v7
	v_mul_f16_sdwa v7, v16, v68 dst_sel:DWORD dst_unused:UNUSED_PAD src0_sel:DWORD src1_sel:WORD_1
	v_fma_f16 v16, v41, v68, -v7
	v_mul_f16_sdwa v7, v26, v69 dst_sel:DWORD dst_unused:UNUSED_PAD src0_sel:DWORD src1_sel:WORD_1
	v_fma_f16 v29, v15, v69, v7
	v_mul_f16_sdwa v7, v15, v69 dst_sel:DWORD dst_unused:UNUSED_PAD src0_sel:DWORD src1_sel:WORD_1
	v_fma_f16 v26, v26, v69, -v7
	v_add_f16_e32 v7, v27, v53
	v_add_f16_e32 v41, v7, v54
	;; [unrolled: 1-line block ×3, first 2 shown]
	v_mul_f16_sdwa v97, v44, v64 dst_sel:DWORD dst_unused:UNUSED_PAD src0_sel:DWORD src1_sel:WORD_1
	v_mul_f16_sdwa v98, v32, v64 dst_sel:DWORD dst_unused:UNUSED_PAD src0_sel:DWORD src1_sel:WORD_1
	v_fma_f16 v7, v7, -0.5, v27
	v_sub_f16_e32 v15, v55, v56
	v_fma_f16 v8, v32, v64, v97
	v_fma_f16 v32, v44, v64, -v98
	v_fma_f16 v27, v15, s6, v7
	v_fma_f16 v44, v15, s7, v7
	v_add_f16_e32 v7, v25, v50
	v_fma_f16 v51, v51, v59, -v88
	v_add_f16_e32 v46, v7, v45
	v_add_f16_e32 v7, v50, v45
	v_mul_f16_sdwa v96, v36, v63 dst_sel:DWORD dst_unused:UNUSED_PAD src0_sel:DWORD src1_sel:WORD_1
	v_fma_f16 v7, v7, -0.5, v25
	v_sub_f16_e32 v15, v52, v51
	v_mul_f16_sdwa v95, v48, v63 dst_sel:DWORD dst_unused:UNUSED_PAD src0_sel:DWORD src1_sel:WORD_1
	v_fma_f16 v40, v48, v63, -v96
	v_fma_f16 v25, v15, s6, v7
	v_fma_f16 v48, v15, s7, v7
	v_add_f16_e32 v7, v23, v38
	v_fma_f16 v43, v43, v60, -v90
	v_fma_f16 v49, v49, v61, -v92
	v_add_f16_e32 v57, v7, v39
	v_add_f16_e32 v7, v38, v39
	v_fma_f16 v7, v7, -0.5, v23
	v_sub_f16_e32 v15, v43, v49
	v_fma_f16 v36, v36, v63, v95
	v_fma_f16 v23, v15, s6, v7
	;; [unrolled: 1-line block ×3, first 2 shown]
	v_add_f16_e32 v7, v24, v31
	v_add_f16_e32 v59, v7, v36
	;; [unrolled: 1-line block ×3, first 2 shown]
	v_fma_f16 v7, v7, -0.5, v24
	v_sub_f16_e32 v15, v37, v40
	v_fma_f16 v24, v15, s6, v7
	v_fma_f16 v60, v15, s7, v7
	v_add_f16_e32 v7, v21, v8
	v_add_f16_e32 v61, v7, v30
	;; [unrolled: 1-line block ×3, first 2 shown]
	v_fma_f16 v7, v7, -0.5, v21
	v_mul_u32_u24_e32 v21, 0x48, v70
	v_add3_u32 v21, 0, v21, v82
	ds_write_b16 v21, v41
	ds_write_b16 v21, v27 offset:24
	ds_write_b16 v21, v44 offset:48
	v_mul_u32_u24_e32 v27, 0x48, v71
	v_add3_u32 v41, 0, v27, v72
	v_sub_f16_e32 v15, v32, v35
	ds_write_b16 v41, v46
	ds_write_b16 v41, v25 offset:24
	ds_write_b16 v41, v48 offset:48
	v_mul_u32_u24_e32 v25, 0x48, v73
	v_fma_f16 v62, v15, s6, v7
	v_fma_f16 v63, v15, s7, v7
	v_add_f16_e32 v7, v17, v9
	v_add3_u32 v44, 0, v25, v74
	v_add_f16_e32 v64, v7, v34
	v_add_f16_e32 v7, v9, v34
	ds_write_b16 v44, v57
	ds_write_b16 v44, v23 offset:24
	ds_write_b16 v44, v58 offset:48
	v_mul_u32_u24_e32 v23, 0x48, v75
	v_fma_f16 v7, v7, -0.5, v17
	v_sub_f16_e32 v15, v33, v42
	v_add3_u32 v46, 0, v23, v76
	v_perm_b32 v23, v78, v77, s3
	v_fma_f16 v65, v15, s6, v7
	v_fma_f16 v66, v15, s7, v7
	v_add_f16_e32 v7, v28, v29
	v_pk_mul_lo_u16 v23, v23, s2 op_sel_hi:[1,0]
	v_lshlrev_b32_e32 v47, 1, v79
	v_fma_f16 v15, v7, -0.5, v11
	v_sub_f16_e32 v17, v16, v26
	ds_write_b16 v46, v59
	ds_write_b16 v46, v24 offset:24
	ds_write_b16 v46, v60 offset:48
	v_and_b32_e32 v24, 0xfff8, v23
	v_lshrrev_b32_e32 v23, 16, v23
	v_fma_f16 v7, v17, s7, v15
	v_add3_u32 v57, 0, v24, v83
	v_add3_u32 v58, 0, v23, v47
	v_mul_lo_u16_e32 v47, 36, v80
	v_lshlrev_b32_e32 v48, 1, v81
	ds_write_b16 v57, v61
	ds_write_b16 v57, v62 offset:24
	ds_write_b16 v57, v63 offset:48
	ds_write_b16 v58, v64
	ds_write_b16 v58, v65 offset:24
	ds_write_b16 v58, v66 offset:48
	s_and_saveexec_b64 s[2:3], s[0:1]
	s_cbranch_execz .LBB0_25
; %bb.24:
	v_mul_f16_e32 v17, 0x3aee, v17
	v_sub_f16_e32 v15, v15, v17
	v_add_f16_e32 v11, v11, v28
	v_lshlrev_b32_e32 v17, 1, v47
	v_add_f16_e32 v11, v11, v29
	v_add3_u32 v17, 0, v48, v17
	ds_write_b16 v17, v11
	ds_write_b16 v17, v15 offset:24
	ds_write_b16 v17, v7 offset:48
.LBB0_25:
	s_or_b64 exec, exec, s[2:3]
	v_add_f16_e32 v11, v22, v55
	v_add_f16_e32 v59, v11, v56
	v_add_f16_e32 v11, v55, v56
	v_fma_f16 v11, v11, -0.5, v22
	v_sub_f16_e32 v15, v53, v54
	v_fma_f16 v53, v15, s7, v11
	v_fma_f16 v54, v15, s6, v11
	v_add_f16_e32 v11, v20, v52
	v_add_f16_e32 v55, v11, v51
	v_add_f16_e32 v11, v52, v51
	v_fma_f16 v11, v11, -0.5, v20
	v_sub_f16_e32 v15, v50, v45
	v_fma_f16 v45, v15, s7, v11
	v_fma_f16 v50, v15, s6, v11
	;; [unrolled: 7-line block ×6, first 2 shown]
	v_sub_f16_e32 v35, v28, v29
	s_waitcnt lgkmcnt(0)
	; wave barrier
	s_waitcnt lgkmcnt(0)
	ds_read_u16 v15, v5
	ds_read_u16 v11, v5 offset:126
	ds_read_u16 v9, v5 offset:252
	;; [unrolled: 1-line block ×17, first 2 shown]
	ds_read_u16 v34, v10
	ds_read_u16 v20, v5 offset:2394
	v_add_f16_e32 v8, v16, v26
	v_fma_f16 v14, v8, -0.5, v12
	v_fma_f16 v8, v35, s6, v14
	s_waitcnt lgkmcnt(0)
	; wave barrier
	s_waitcnt lgkmcnt(0)
	ds_write_b16 v21, v59
	ds_write_b16 v21, v53 offset:24
	ds_write_b16 v21, v54 offset:48
	ds_write_b16 v41, v55
	ds_write_b16 v41, v45 offset:24
	ds_write_b16 v41, v50 offset:48
	;; [unrolled: 3-line block ×6, first 2 shown]
	s_and_saveexec_b64 s[2:3], s[0:1]
	s_cbranch_execz .LBB0_27
; %bb.26:
	v_add_f16_e32 v12, v12, v16
	v_lshlrev_b32_e32 v16, 1, v47
	v_mul_f16_e32 v21, 0x3aee, v35
	v_add_f16_e32 v12, v12, v26
	v_add3_u32 v16, 0, v48, v16
	v_add_f16_e32 v14, v21, v14
	ds_write_b16 v16, v12
	ds_write_b16 v16, v14 offset:24
	ds_write_b16 v16, v8 offset:48
.LBB0_27:
	s_or_b64 exec, exec, s[2:3]
	v_subrev_u32_e32 v12, 36, v0
	v_cmp_gt_u32_e64 s[0:1], 36, v0
	v_mov_b32_e32 v37, 0
	v_mov_b32_e32 v14, 4
	v_cndmask_b32_e64 v26, v12, v0, s[0:1]
	v_mov_b32_e32 v12, 57
	v_mul_lo_u16_sdwa v16, v1, v12 dst_sel:DWORD dst_unused:UNUSED_PAD src0_sel:BYTE_0 src1_sel:DWORD
	v_lshrrev_b16_e32 v72, 11, v16
	v_mul_lo_u16_e32 v16, 36, v72
	v_lshlrev_b32_e32 v36, 2, v26
	v_sub_u16_e32 v73, v1, v16
	v_lshl_add_u64 v[36:37], v[36:37], 2, s[4:5]
	v_lshlrev_b32_sdwa v16, v14, v73 dst_sel:DWORD dst_unused:UNUSED_PAD src0_sel:DWORD src1_sel:BYTE_0
	s_waitcnt lgkmcnt(0)
	; wave barrier
	s_waitcnt lgkmcnt(0)
	global_load_dwordx4 v[40:43], v[36:37], off offset:136
	global_load_dwordx4 v[48:51], v16, s[4:5] offset:136
	v_mul_lo_u16_sdwa v16, v4, v12 dst_sel:DWORD dst_unused:UNUSED_PAD src0_sel:BYTE_0 src1_sel:DWORD
	v_lshrrev_b16_e32 v74, 11, v16
	v_mul_lo_u16_e32 v16, 36, v74
	v_sub_u16_e32 v75, v4, v16
	v_lshlrev_b32_sdwa v16, v14, v75 dst_sel:DWORD dst_unused:UNUSED_PAD src0_sel:DWORD src1_sel:BYTE_0
	v_mul_lo_u16_sdwa v12, v6, v12 dst_sel:DWORD dst_unused:UNUSED_PAD src0_sel:BYTE_0 src1_sel:DWORD
	global_load_dwordx4 v[64:67], v16, s[4:5] offset:136
	v_lshrrev_b16_e32 v76, 11, v12
	v_mul_lo_u16_e32 v12, 36, v76
	v_sub_u16_e32 v77, v6, v12
	v_lshlrev_b32_sdwa v6, v14, v77 dst_sel:DWORD dst_unused:UNUSED_PAD src0_sel:DWORD src1_sel:BYTE_0
	global_load_dwordx4 v[68:71], v6, s[4:5] offset:136
	ds_read_u16 v6, v10
	ds_read_u16 v39, v5
	ds_read_u16 v14, v5 offset:126
	ds_read_u16 v16, v5 offset:252
	ds_read_u16 v10, v5 offset:756
	ds_read_u16 v12, v5 offset:1134
	ds_read_u16 v35, v5 offset:1260
	ds_read_u16 v36, v5 offset:1638
	ds_read_u16 v37, v5 offset:1764
	ds_read_u16 v38, v5 offset:2142
	ds_read_u16 v78, v5 offset:2268
	ds_read_u16 v44, v5 offset:1008
	ds_read_u16 v79, v5 offset:882
	ds_read_u16 v45, v5 offset:630
	ds_read_u16 v21, v5 offset:378
	ds_read_u16 v46, v5 offset:2016
	ds_read_u16 v80, v5 offset:1890
	ds_read_u16 v47, v5 offset:1512
	ds_read_u16 v81, v5 offset:1386
	ds_read_u16 v82, v5 offset:2394
	s_mov_b32 s7, 0xbb9c
	s_movk_i32 s9, 0x3b9c
	s_mov_b32 s6, 0xb8b4
	s_movk_i32 s10, 0x38b4
	s_movk_i32 s8, 0x34f2
	v_cmp_lt_u32_e64 s[0:1], 35, v0
	v_lshlrev_b32_e32 v26, 1, v26
	s_waitcnt lgkmcnt(0)
	; wave barrier
	s_waitcnt vmcnt(3) lgkmcnt(0)
	v_mul_f16_sdwa v52, v6, v40 dst_sel:DWORD dst_unused:UNUSED_PAD src0_sel:DWORD src1_sel:WORD_1
	v_mul_f16_sdwa v53, v34, v40 dst_sel:DWORD dst_unused:UNUSED_PAD src0_sel:DWORD src1_sel:WORD_1
	;; [unrolled: 1-line block ×6, first 2 shown]
	v_fma_f16 v60, v34, v40, v52
	v_fma_f16 v52, v6, v40, -v53
	s_waitcnt vmcnt(2)
	v_mul_f16_sdwa v6, v45, v48 dst_sel:DWORD dst_unused:UNUSED_PAD src0_sel:DWORD src1_sel:WORD_1
	v_mul_f16_sdwa v54, v44, v41 dst_sel:DWORD dst_unused:UNUSED_PAD src0_sel:DWORD src1_sel:WORD_1
	v_fma_f16 v53, v44, v41, -v55
	v_fma_f16 v62, v33, v42, v56
	v_fma_f16 v63, v32, v43, v58
	v_fma_f16 v55, v46, v43, -v59
	s_waitcnt vmcnt(1)
	v_mul_f16_sdwa v43, v10, v64 dst_sel:DWORD dst_unused:UNUSED_PAD src0_sel:DWORD src1_sel:WORD_1
	v_mul_f16_sdwa v46, v18, v64 dst_sel:DWORD dst_unused:UNUSED_PAD src0_sel:DWORD src1_sel:WORD_1
	v_fma_f16 v56, v30, v48, v6
	v_mul_f16_sdwa v6, v37, v66 dst_sel:DWORD dst_unused:UNUSED_PAD src0_sel:DWORD src1_sel:WORD_1
	v_mul_f16_sdwa v57, v33, v42 dst_sel:DWORD dst_unused:UNUSED_PAD src0_sel:DWORD src1_sel:WORD_1
	v_fma_f16 v61, v31, v41, v54
	v_mul_f16_sdwa v31, v30, v48 dst_sel:DWORD dst_unused:UNUSED_PAD src0_sel:DWORD src1_sel:WORD_1
	v_mul_f16_sdwa v32, v12, v49 dst_sel:DWORD dst_unused:UNUSED_PAD src0_sel:DWORD src1_sel:WORD_1
	;; [unrolled: 1-line block ×4, first 2 shown]
	v_fma_f16 v44, v18, v64, v43
	v_fma_f16 v18, v10, v64, -v46
	v_fma_f16 v46, v23, v66, v6
	v_mul_f16_sdwa v6, v23, v66 dst_sel:DWORD dst_unused:UNUSED_PAD src0_sel:DWORD src1_sel:WORD_1
	v_fma_f16 v54, v47, v42, -v57
	v_mul_f16_sdwa v34, v36, v50 dst_sel:DWORD dst_unused:UNUSED_PAD src0_sel:DWORD src1_sel:WORD_1
	v_fma_f16 v47, v45, v48, -v31
	v_fma_f16 v57, v27, v49, v32
	v_fma_f16 v48, v12, v49, -v33
	v_fma_f16 v49, v36, v50, -v40
	;; [unrolled: 1-line block ×3, first 2 shown]
	v_mul_f16_sdwa v6, v78, v67 dst_sel:DWORD dst_unused:UNUSED_PAD src0_sel:DWORD src1_sel:WORD_1
	v_mul_f16_sdwa v41, v38, v51 dst_sel:DWORD dst_unused:UNUSED_PAD src0_sel:DWORD src1_sel:WORD_1
	;; [unrolled: 1-line block ×3, first 2 shown]
	v_fma_f16 v58, v28, v50, v34
	v_fma_f16 v50, v17, v67, v6
	v_mul_f16_sdwa v6, v17, v67 dst_sel:DWORD dst_unused:UNUSED_PAD src0_sel:DWORD src1_sel:WORD_1
	v_fma_f16 v59, v29, v51, v41
	v_fma_f16 v51, v38, v51, -v42
	v_fma_f16 v42, v78, v67, -v6
	s_waitcnt vmcnt(0)
	v_mul_f16_sdwa v6, v79, v68 dst_sel:DWORD dst_unused:UNUSED_PAD src0_sel:DWORD src1_sel:WORD_1
	v_fma_f16 v17, v22, v68, v6
	v_mul_f16_sdwa v6, v22, v68 dst_sel:DWORD dst_unused:UNUSED_PAD src0_sel:DWORD src1_sel:WORD_1
	v_fma_f16 v22, v79, v68, -v6
	v_mul_f16_sdwa v6, v81, v69 dst_sel:DWORD dst_unused:UNUSED_PAD src0_sel:DWORD src1_sel:WORD_1
	v_fma_f16 v37, v24, v69, v6
	v_mul_f16_sdwa v6, v24, v69 dst_sel:DWORD dst_unused:UNUSED_PAD src0_sel:DWORD src1_sel:WORD_1
	v_fma_f16 v34, v81, v69, -v6
	v_mul_f16_sdwa v6, v80, v70 dst_sel:DWORD dst_unused:UNUSED_PAD src0_sel:DWORD src1_sel:WORD_1
	v_mul_f16_sdwa v84, v25, v65 dst_sel:DWORD dst_unused:UNUSED_PAD src0_sel:DWORD src1_sel:WORD_1
	v_fma_f16 v41, v19, v70, v6
	v_mul_f16_sdwa v6, v19, v70 dst_sel:DWORD dst_unused:UNUSED_PAD src0_sel:DWORD src1_sel:WORD_1
	v_mul_f16_sdwa v83, v35, v65 dst_sel:DWORD dst_unused:UNUSED_PAD src0_sel:DWORD src1_sel:WORD_1
	v_fma_f16 v38, v35, v65, -v84
	v_fma_f16 v35, v80, v70, -v6
	v_mul_f16_sdwa v6, v82, v71 dst_sel:DWORD dst_unused:UNUSED_PAD src0_sel:DWORD src1_sel:WORD_1
	v_fma_f16 v43, v20, v71, v6
	v_mul_f16_sdwa v6, v20, v71 dst_sel:DWORD dst_unused:UNUSED_PAD src0_sel:DWORD src1_sel:WORD_1
	v_fma_f16 v36, v82, v71, -v6
	v_add_f16_e32 v6, v15, v60
	v_add_f16_e32 v6, v6, v61
	;; [unrolled: 1-line block ×5, first 2 shown]
	v_fma_f16 v6, v6, -0.5, v15
	v_sub_f16_e32 v10, v52, v55
	v_fma_f16 v12, v10, s7, v6
	v_sub_f16_e32 v20, v53, v54
	v_sub_f16_e32 v23, v60, v61
	;; [unrolled: 1-line block ×3, first 2 shown]
	v_fma_f16 v6, v10, s9, v6
	v_fma_f16 v12, v20, s6, v12
	v_add_f16_e32 v23, v23, v24
	v_fma_f16 v6, v20, s10, v6
	v_fma_f16 v24, v23, s8, v12
	;; [unrolled: 1-line block ×3, first 2 shown]
	v_add_f16_e32 v6, v60, v63
	v_fma_f16 v6, v6, -0.5, v15
	v_fma_f16 v45, v25, v65, v83
	v_fma_f16 v12, v20, s9, v6
	v_sub_f16_e32 v15, v61, v60
	v_sub_f16_e32 v25, v62, v63
	v_fma_f16 v6, v20, s7, v6
	v_fma_f16 v12, v10, s6, v12
	v_add_f16_e32 v15, v15, v25
	v_fma_f16 v6, v10, s10, v6
	v_fma_f16 v25, v15, s8, v12
	;; [unrolled: 1-line block ×3, first 2 shown]
	v_add_f16_e32 v6, v11, v56
	v_add_f16_e32 v6, v6, v57
	;; [unrolled: 1-line block ×5, first 2 shown]
	v_fma_f16 v6, v6, -0.5, v11
	v_sub_f16_e32 v10, v47, v51
	v_fma_f16 v12, v10, s7, v6
	v_sub_f16_e32 v27, v48, v49
	v_sub_f16_e32 v28, v56, v57
	;; [unrolled: 1-line block ×3, first 2 shown]
	v_fma_f16 v6, v10, s9, v6
	v_fma_f16 v12, v27, s6, v12
	v_add_f16_e32 v28, v28, v29
	v_fma_f16 v6, v27, s10, v6
	v_fma_f16 v29, v28, s8, v12
	;; [unrolled: 1-line block ×3, first 2 shown]
	v_add_f16_e32 v6, v56, v59
	v_fma_f16 v6, v6, -0.5, v11
	v_fma_f16 v11, v27, s9, v6
	v_sub_f16_e32 v12, v57, v56
	v_sub_f16_e32 v30, v58, v59
	v_fma_f16 v6, v27, s7, v6
	v_add_f16_e32 v12, v12, v30
	v_fma_f16 v6, v10, s10, v6
	v_fma_f16 v27, v12, s8, v6
	v_add_f16_e32 v6, v9, v44
	v_add_f16_e32 v6, v6, v45
	;; [unrolled: 1-line block ×5, first 2 shown]
	v_fma_f16 v11, v10, s6, v11
	v_fma_f16 v6, v6, -0.5, v9
	v_sub_f16_e32 v10, v18, v42
	v_fma_f16 v30, v12, s8, v11
	v_fma_f16 v11, v10, s7, v6
	v_sub_f16_e32 v12, v38, v40
	v_sub_f16_e32 v32, v44, v45
	;; [unrolled: 1-line block ×3, first 2 shown]
	v_fma_f16 v11, v12, s6, v11
	v_add_f16_e32 v32, v32, v33
	v_fma_f16 v33, v32, s8, v11
	v_fma_f16 v6, v10, s9, v6
	v_add_f16_e32 v11, v44, v50
	v_fma_f16 v6, v12, s10, v6
	v_fma_f16 v9, v11, -0.5, v9
	v_fma_f16 v6, v32, s8, v6
	v_fma_f16 v11, v12, s9, v9
	v_sub_f16_e32 v32, v45, v44
	v_sub_f16_e32 v64, v46, v50
	v_fma_f16 v9, v12, s7, v9
	v_fma_f16 v11, v10, s6, v11
	v_add_f16_e32 v32, v32, v64
	v_fma_f16 v9, v10, s10, v9
	v_add_f16_e32 v10, v37, v41
	v_fma_f16 v67, v32, s8, v11
	v_fma_f16 v11, v10, -0.5, v13
	v_sub_f16_e32 v64, v22, v36
	v_fma_f16 v10, v64, s7, v11
	v_sub_f16_e32 v65, v34, v35
	v_sub_f16_e32 v12, v17, v37
	v_sub_f16_e32 v66, v43, v41
	v_fma_f16 v11, v64, s9, v11
	v_fma_f16 v10, v65, s6, v10
	v_add_f16_e32 v12, v12, v66
	v_fma_f16 v11, v65, s10, v11
	v_fma_f16 v10, v12, s8, v10
	;; [unrolled: 1-line block ×3, first 2 shown]
	v_add_f16_e32 v12, v17, v43
	v_fma_f16 v32, v32, s8, v9
	v_add_f16_e32 v9, v13, v17
	v_fma_f16 v13, v12, -0.5, v13
	v_fma_f16 v12, v65, s9, v13
	v_fma_f16 v13, v65, s7, v13
	;; [unrolled: 1-line block ×4, first 2 shown]
	v_mov_b32_e32 v64, 0x168
	v_cndmask_b32_e64 v64, 0, v64, s[0:1]
	v_add3_u32 v64, 0, v64, v26
	ds_write_b16 v64, v19
	ds_write_b16 v64, v24 offset:72
	ds_write_b16 v64, v25 offset:144
	;; [unrolled: 1-line block ×4, first 2 shown]
	v_mov_b32_e32 v19, 1
	v_mul_u32_u24_e32 v15, 0x168, v72
	v_lshlrev_b32_sdwa v23, v19, v73 dst_sel:DWORD dst_unused:UNUSED_PAD src0_sel:DWORD src1_sel:BYTE_0
	v_sub_f16_e32 v66, v37, v17
	v_sub_f16_e32 v68, v41, v43
	v_add3_u32 v65, 0, v15, v23
	v_add_f16_e32 v9, v9, v37
	v_add_f16_e32 v66, v66, v68
	ds_write_b16 v65, v20
	ds_write_b16 v65, v29 offset:72
	ds_write_b16 v65, v30 offset:144
	;; [unrolled: 1-line block ×4, first 2 shown]
	v_mul_u32_u24_e32 v15, 0x168, v74
	v_lshlrev_b32_sdwa v20, v19, v75 dst_sel:DWORD dst_unused:UNUSED_PAD src0_sel:DWORD src1_sel:BYTE_0
	v_add_f16_e32 v9, v9, v41
	v_fma_f16 v12, v66, s8, v12
	v_fma_f16 v13, v66, s8, v13
	v_add3_u32 v66, 0, v15, v20
	v_mul_u32_u24_e32 v15, 0x168, v76
	v_lshlrev_b32_sdwa v19, v19, v77 dst_sel:DWORD dst_unused:UNUSED_PAD src0_sel:DWORD src1_sel:BYTE_0
	v_add_f16_e32 v9, v9, v43
	ds_write_b16 v66, v31
	ds_write_b16 v66, v33 offset:72
	ds_write_b16 v66, v67 offset:144
	;; [unrolled: 1-line block ×4, first 2 shown]
	v_add3_u32 v67, 0, v15, v19
	ds_write_b16 v67, v9
	ds_write_b16 v67, v10 offset:72
	ds_write_b16 v67, v12 offset:144
	;; [unrolled: 1-line block ×4, first 2 shown]
	s_waitcnt lgkmcnt(0)
	; wave barrier
	s_waitcnt lgkmcnt(0)
	ds_read_u16 v15, v5
	ds_read_u16 v19, v5 offset:1440
	ds_read_u16 v28, v5 offset:1206
	;; [unrolled: 1-line block ×13, first 2 shown]
	v_cmp_gt_u32_e64 s[0:1], 54, v0
	s_and_saveexec_b64 s[2:3], s[0:1]
	s_cbranch_execz .LBB0_29
; %bb.28:
	ds_read_u16 v6, v5 offset:252
	ds_read_u16 v9, v5 offset:612
	;; [unrolled: 1-line block ×7, first 2 shown]
.LBB0_29:
	s_or_b64 exec, exec, s[2:3]
	v_add_f16_e32 v69, v53, v54
	v_fma_f16 v69, v69, -0.5, v39
	v_sub_f16_e32 v60, v60, v63
	v_fma_f16 v63, v60, s9, v69
	v_sub_f16_e32 v61, v61, v62
	v_add_f16_e32 v68, v39, v52
	v_fma_f16 v62, v61, s10, v63
	v_sub_f16_e32 v63, v52, v53
	v_sub_f16_e32 v70, v55, v54
	v_fma_f16 v69, v60, s7, v69
	v_add_f16_e32 v68, v68, v53
	v_add_f16_e32 v63, v63, v70
	v_fma_f16 v69, v61, s6, v69
	v_add_f16_e32 v68, v68, v54
	v_fma_f16 v62, v63, s8, v62
	v_fma_f16 v63, v63, s8, v69
	v_add_f16_e32 v69, v52, v55
	v_sub_f16_e32 v52, v53, v52
	v_sub_f16_e32 v53, v54, v55
	v_add_f16_e32 v54, v48, v49
	v_add_f16_e32 v68, v68, v55
	v_fma_f16 v54, v54, -0.5, v14
	v_sub_f16_e32 v55, v56, v59
	v_fma_f16 v39, v69, -0.5, v39
	v_fma_f16 v56, v55, s9, v54
	v_sub_f16_e32 v57, v57, v58
	v_sub_f16_e32 v58, v47, v48
	;; [unrolled: 1-line block ×3, first 2 shown]
	v_fma_f16 v54, v55, s7, v54
	v_fma_f16 v69, v61, s7, v39
	;; [unrolled: 1-line block ×4, first 2 shown]
	v_add_f16_e32 v58, v58, v59
	v_fma_f16 v54, v57, s6, v54
	v_fma_f16 v69, v60, s10, v69
	v_add_f16_e32 v52, v52, v53
	v_fma_f16 v39, v60, s6, v39
	v_fma_f16 v56, v58, s8, v56
	;; [unrolled: 1-line block ×3, first 2 shown]
	v_add_f16_e32 v58, v47, v51
	v_fma_f16 v53, v52, s8, v69
	v_fma_f16 v39, v52, s8, v39
	v_add_f16_e32 v52, v14, v47
	v_fma_f16 v14, v58, -0.5, v14
	v_add_f16_e32 v52, v52, v48
	v_fma_f16 v58, v57, s7, v14
	v_sub_f16_e32 v47, v48, v47
	v_sub_f16_e32 v48, v49, v51
	v_fma_f16 v14, v57, s9, v14
	v_fma_f16 v58, v55, s10, v58
	v_add_f16_e32 v47, v47, v48
	v_fma_f16 v14, v55, s6, v14
	v_fma_f16 v48, v47, s8, v58
	;; [unrolled: 1-line block ×3, first 2 shown]
	v_add_f16_e32 v14, v16, v18
	v_add_f16_e32 v14, v14, v38
	;; [unrolled: 1-line block ×6, first 2 shown]
	v_fma_f16 v14, v14, -0.5, v16
	v_sub_f16_e32 v44, v44, v50
	v_fma_f16 v50, v44, s9, v14
	v_sub_f16_e32 v45, v45, v46
	v_add_f16_e32 v52, v52, v51
	v_fma_f16 v46, v45, s10, v50
	v_sub_f16_e32 v50, v18, v38
	v_sub_f16_e32 v51, v42, v40
	v_fma_f16 v14, v44, s7, v14
	v_add_f16_e32 v50, v50, v51
	v_fma_f16 v14, v45, s6, v14
	v_fma_f16 v46, v50, s8, v46
	;; [unrolled: 1-line block ×3, first 2 shown]
	v_add_f16_e32 v50, v18, v42
	v_fma_f16 v16, v50, -0.5, v16
	v_fma_f16 v50, v45, s7, v16
	v_sub_f16_e32 v18, v38, v18
	v_sub_f16_e32 v38, v40, v42
	v_fma_f16 v16, v45, s9, v16
	v_fma_f16 v50, v44, s10, v50
	v_add_f16_e32 v18, v18, v38
	v_fma_f16 v16, v44, s6, v16
	v_fma_f16 v38, v18, s8, v50
	;; [unrolled: 1-line block ×3, first 2 shown]
	v_add_f16_e32 v18, v34, v35
	v_fma_f16 v18, v18, -0.5, v21
	v_sub_f16_e32 v42, v17, v43
	v_fma_f16 v17, v42, s9, v18
	v_sub_f16_e32 v37, v37, v41
	v_sub_f16_e32 v41, v22, v34
	;; [unrolled: 1-line block ×3, first 2 shown]
	v_fma_f16 v18, v42, s7, v18
	v_fma_f16 v17, v37, s10, v17
	v_add_f16_e32 v41, v41, v43
	v_fma_f16 v18, v37, s6, v18
	v_add_f16_e32 v16, v21, v22
	v_fma_f16 v17, v41, s8, v17
	v_fma_f16 v18, v41, s8, v18
	v_add_f16_e32 v41, v22, v36
	v_add_f16_e32 v16, v16, v34
	v_fma_f16 v41, v41, -0.5, v21
	v_sub_f16_e32 v22, v34, v22
	v_sub_f16_e32 v34, v35, v36
	v_fma_f16 v21, v37, s7, v41
	v_add_f16_e32 v22, v22, v34
	v_fma_f16 v34, v37, s9, v41
	v_add_f16_e32 v16, v16, v35
	v_fma_f16 v21, v42, s10, v21
	v_fma_f16 v34, v42, s6, v34
	v_add_f16_e32 v16, v16, v36
	v_fma_f16 v21, v22, s8, v21
	v_fma_f16 v22, v22, s8, v34
	s_waitcnt lgkmcnt(0)
	; wave barrier
	s_waitcnt lgkmcnt(0)
	ds_write_b16 v64, v68
	ds_write_b16 v64, v62 offset:72
	ds_write_b16 v64, v53 offset:144
	ds_write_b16 v64, v39 offset:216
	ds_write_b16 v64, v63 offset:288
	ds_write_b16 v65, v52
	ds_write_b16 v65, v56 offset:72
	ds_write_b16 v65, v48 offset:144
	ds_write_b16 v65, v47 offset:216
	ds_write_b16 v65, v54 offset:288
	;; [unrolled: 5-line block ×4, first 2 shown]
	s_waitcnt lgkmcnt(0)
	; wave barrier
	s_waitcnt lgkmcnt(0)
	ds_read_u16 v34, v5
	ds_read_u16 v35, v5 offset:1440
	ds_read_u16 v43, v5 offset:1206
	;; [unrolled: 1-line block ×13, first 2 shown]
	s_and_saveexec_b64 s[2:3], s[0:1]
	s_cbranch_execz .LBB0_31
; %bb.30:
	ds_read_u16 v14, v5 offset:252
	ds_read_u16 v16, v5 offset:612
	ds_read_u16 v17, v5 offset:972
	ds_read_u16 v21, v5 offset:1332
	ds_read_u16 v22, v5 offset:1692
	ds_read_u16 v18, v5 offset:2052
	ds_read_u16 v8, v5 offset:2412
.LBB0_31:
	s_or_b64 exec, exec, s[2:3]
	s_and_saveexec_b64 s[2:3], vcc
	s_cbranch_execz .LBB0_34
; %bb.32:
	v_mul_u32_u24_e32 v1, 6, v1
	v_lshlrev_b32_e32 v1, 2, v1
	global_load_dwordx4 v[48:51], v1, s[4:5] offset:712
	global_load_dwordx2 v[56:57], v1, s[4:5] offset:728
	v_mul_u32_u24_e32 v1, 6, v0
	v_lshlrev_b32_e32 v1, 2, v1
	global_load_dwordx4 v[52:55], v1, s[4:5] offset:712
	global_load_dwordx2 v[58:59], v1, s[4:5] offset:728
	s_mov_b32 s3, 0xb574
	s_movk_i32 s12, 0x3a52
	s_mov_b32 s6, 0xbcab
	s_mov_b32 s8, 0xbb00
	s_movk_i32 s9, 0x3574
	s_mov_b32 s10, 0xb9e0
	s_movk_i32 s11, 0x39e0
	;; [unrolled: 2-line block ×3, first 2 shown]
	s_waitcnt vmcnt(3) lgkmcnt(7)
	v_mul_f16_sdwa v1, v44, v48 dst_sel:DWORD dst_unused:UNUSED_PAD src0_sel:DWORD src1_sel:WORD_1
	s_waitcnt vmcnt(2) lgkmcnt(4)
	v_mul_f16_sdwa v5, v46, v57 dst_sel:DWORD dst_unused:UNUSED_PAD src0_sel:DWORD src1_sel:WORD_1
	s_waitcnt lgkmcnt(0)
	v_mul_f16_sdwa v60, v47, v51 dst_sel:DWORD dst_unused:UNUSED_PAD src0_sel:DWORD src1_sel:WORD_1
	v_mul_f16_sdwa v61, v43, v50 dst_sel:DWORD dst_unused:UNUSED_PAD src0_sel:DWORD src1_sel:WORD_1
	;; [unrolled: 1-line block ×10, first 2 shown]
	v_fma_f16 v1, v30, v48, v1
	v_fma_f16 v5, v32, v57, v5
	;; [unrolled: 1-line block ×6, first 2 shown]
	v_fma_f16 v32, v46, v57, -v64
	v_fma_f16 v33, v44, v48, -v65
	;; [unrolled: 1-line block ×6, first 2 shown]
	v_sub_f16_e32 v46, v1, v5
	v_sub_f16_e32 v47, v30, v28
	;; [unrolled: 1-line block ×3, first 2 shown]
	v_add_f16_e32 v49, v33, v32
	v_add_f16_e32 v51, v42, v45
	;; [unrolled: 1-line block ×5, first 2 shown]
	v_sub_f16_e32 v29, v33, v32
	v_sub_f16_e32 v30, v44, v43
	;; [unrolled: 1-line block ×3, first 2 shown]
	v_add_f16_e32 v50, v44, v43
	v_add_f16_e32 v45, v49, v51
	;; [unrolled: 1-line block ×3, first 2 shown]
	v_sub_f16_e32 v60, v29, v30
	v_sub_f16_e32 v61, v30, v31
	v_add_f16_e32 v30, v30, v31
	v_sub_f16_e32 v32, v46, v47
	v_sub_f16_e32 v33, v47, v48
	v_add_f16_e32 v42, v47, v48
	v_sub_f16_e32 v44, v50, v51
	v_sub_f16_e32 v47, v1, v5
	v_sub_f16_e32 v56, v5, v28
	v_add_f16_e32 v45, v50, v45
	v_add_f16_e32 v5, v5, v57
	;; [unrolled: 1-line block ×3, first 2 shown]
	v_sub_f16_e32 v29, v31, v29
	v_sub_f16_e32 v43, v49, v50
	;; [unrolled: 1-line block ×3, first 2 shown]
	v_mul_f16_e32 v33, 0x3846, v33
	v_mul_f16_e32 v44, 0x2b26, v44
	;; [unrolled: 1-line block ×5, first 2 shown]
	v_add_f16_e32 v41, v41, v45
	v_add_f16_e32 v27, v27, v5
	v_sub_f16_e32 v1, v28, v1
	v_mul_f16_e32 v31, 0xbb00, v29
	v_add_f16_e32 v42, v46, v42
	v_mul_f16_e32 v46, 0x3a52, v43
	v_mul_f16_e32 v61, 0xbb00, v48
	v_fma_f16 v62, v32, s3, v33
	v_fma_f16 v43, v43, s12, v44
	;; [unrolled: 1-line block ×4, first 2 shown]
	v_sub_f16_e32 v49, v51, v49
	v_fma_f16 v28, v1, s10, -v50
	v_fma_f16 v31, v60, s9, -v31
	;; [unrolled: 1-line block ×4, first 2 shown]
	v_fma_f16 v47, v47, s12, v56
	v_fma_f16 v63, v60, s3, v57
	v_fma_f16 v32, v32, s9, -v61
	v_fma_f16 v61, v42, s2, v62
	v_add_f16_e32 v43, v43, v45
	v_fma_f16 v46, v49, s10, -v46
	v_add_f16_e32 v28, v28, v5
	v_fma_f16 v31, v30, s2, v31
	v_fma_f16 v29, v30, s2, v29
	v_add_f16_e32 v1, v1, v5
	v_fma_f16 v62, v30, s2, v63
	v_fma_f16 v32, v42, s2, v32
	v_add_f16_e32 v47, v47, v5
	v_add_f16_e32 v63, v61, v43
	;; [unrolled: 1-line block ×3, first 2 shown]
	v_sub_f16_e32 v50, v28, v31
	v_fma_f16 v44, v49, s11, -v44
	v_add_f16_e32 v5, v29, v1
	v_sub_f16_e32 v29, v1, v29
	v_add_f16_e32 v28, v31, v28
	v_sub_f16_e32 v31, v43, v61
	s_waitcnt vmcnt(1)
	v_mul_f16_sdwa v1, v39, v52 dst_sel:DWORD dst_unused:UNUSED_PAD src0_sel:DWORD src1_sel:WORD_1
	s_waitcnt vmcnt(0)
	v_mul_f16_sdwa v43, v40, v59 dst_sel:DWORD dst_unused:UNUSED_PAD src0_sel:DWORD src1_sel:WORD_1
	v_mul_f16_sdwa v49, v36, v53 dst_sel:DWORD dst_unused:UNUSED_PAD src0_sel:DWORD src1_sel:WORD_1
	;; [unrolled: 1-line block ×3, first 2 shown]
	v_add_f16_e32 v51, v32, v46
	v_add_f16_e32 v44, v44, v45
	v_fma_f16 v33, v48, s8, -v33
	v_sub_f16_e32 v32, v46, v32
	v_fma_f16 v1, v25, v52, v1
	v_fma_f16 v43, v26, v59, v43
	v_mul_f16_sdwa v45, v35, v55 dst_sel:DWORD dst_unused:UNUSED_PAD src0_sel:DWORD src1_sel:WORD_1
	v_mul_f16_sdwa v46, v37, v54 dst_sel:DWORD dst_unused:UNUSED_PAD src0_sel:DWORD src1_sel:WORD_1
	v_fma_f16 v49, v20, v53, v49
	v_fma_f16 v56, v24, v58, v56
	v_mul_f16_sdwa v26, v26, v59 dst_sel:DWORD dst_unused:UNUSED_PAD src0_sel:DWORD src1_sel:WORD_1
	v_mul_f16_sdwa v25, v25, v52 dst_sel:DWORD dst_unused:UNUSED_PAD src0_sel:DWORD src1_sel:WORD_1
	v_mul_f16_sdwa v24, v24, v58 dst_sel:DWORD dst_unused:UNUSED_PAD src0_sel:DWORD src1_sel:WORD_1
	v_mul_f16_sdwa v20, v20, v53 dst_sel:DWORD dst_unused:UNUSED_PAD src0_sel:DWORD src1_sel:WORD_1
	v_fma_f16 v33, v42, s2, v33
	v_fma_f16 v45, v19, v55, v45
	v_fma_f16 v46, v23, v54, v46
	v_fma_f16 v26, v40, v59, -v26
	v_fma_f16 v25, v39, v52, -v25
	v_mul_f16_sdwa v23, v23, v54 dst_sel:DWORD dst_unused:UNUSED_PAD src0_sel:DWORD src1_sel:WORD_1
	v_mul_f16_sdwa v19, v19, v55 dst_sel:DWORD dst_unused:UNUSED_PAD src0_sel:DWORD src1_sel:WORD_1
	v_fma_f16 v24, v38, v58, -v24
	v_fma_f16 v20, v36, v53, -v20
	v_sub_f16_e32 v42, v44, v33
	v_add_f16_e32 v30, v33, v44
	v_sub_f16_e32 v44, v1, v43
	v_sub_f16_e32 v57, v49, v56
	v_add_f16_e32 v39, v25, v26
	v_fma_f16 v23, v37, v54, -v23
	v_fma_f16 v19, v35, v55, -v19
	v_add_f16_e32 v36, v20, v24
	v_add_f16_e32 v1, v1, v43
	;; [unrolled: 1-line block ×7, first 2 shown]
	v_sub_f16_e32 v25, v25, v26
	v_sub_f16_e32 v19, v19, v23
	;; [unrolled: 1-line block ×4, first 2 shown]
	v_add_f16_e32 v33, v62, v47
	v_sub_f16_e32 v47, v45, v46
	v_sub_f16_e32 v37, v39, v35
	;; [unrolled: 1-line block ×3, first 2 shown]
	v_add_f16_e32 v35, v35, v52
	v_sub_f16_e32 v45, v1, v43
	v_sub_f16_e32 v53, v43, v49
	v_add_f16_e32 v43, v43, v54
	v_sub_f16_e32 v23, v25, v19
	v_sub_f16_e32 v24, v19, v20
	;; [unrolled: 3-line block ×3, first 2 shown]
	v_sub_f16_e32 v60, v47, v57
	v_add_f16_e32 v47, v47, v57
	v_mul_f16_e32 v40, 0x3a52, v37
	v_mul_f16_e32 v38, 0x2b26, v38
	v_add_f16_e32 v34, v34, v35
	v_mul_f16_e32 v46, 0x3a52, v45
	v_mul_f16_e32 v53, 0x2b26, v53
	v_add_f16_e32 v15, v15, v43
	v_mul_f16_e32 v24, 0x3846, v24
	v_add_f16_e32 v19, v25, v19
	v_sub_f16_e32 v36, v36, v39
	v_sub_f16_e32 v1, v49, v1
	v_mul_f16_e32 v25, 0xbb00, v20
	v_mul_f16_e32 v60, 0x3846, v60
	v_add_f16_e32 v47, v44, v47
	v_fma_f16 v37, v37, s12, v38
	v_fma_f16 v35, v35, s6, v34
	;; [unrolled: 1-line block ×4, first 2 shown]
	v_sub_f16_e32 v44, v57, v44
	v_fma_f16 v39, v36, s10, -v40
	v_fma_f16 v46, v1, s10, -v46
	;; [unrolled: 1-line block ×6, first 2 shown]
	v_fma_f16 v61, v48, s3, v60
	v_add_f16_e32 v37, v37, v35
	v_fma_f16 v45, v45, s12, v53
	v_fma_f16 v26, v19, s2, v26
	v_mul_f16_e32 v55, 0xbb00, v44
	v_add_f16_e32 v39, v39, v35
	v_fma_f16 v23, v19, s2, v23
	v_add_f16_e32 v35, v36, v35
	v_fma_f16 v36, v44, s8, -v60
	v_fma_f16 v19, v19, s2, v20
	v_add_f16_e32 v1, v1, v43
	v_fma_f16 v61, v47, s2, v61
	v_add_f16_e32 v45, v45, v43
	v_fma_f16 v48, v48, s9, -v55
	v_fma_f16 v36, v47, s2, v36
	v_add_f16_e32 v20, v19, v1
	v_sub_f16_e32 v19, v1, v19
	v_mov_b32_e32 v1, 0
	v_sub_f16_e32 v54, v45, v26
	v_fma_f16 v48, v47, s2, v48
	v_add_f16_e32 v46, v46, v43
	v_sub_f16_e32 v38, v35, v36
	v_add_f16_e32 v24, v36, v35
	v_sub_f16_e32 v36, v37, v61
	v_add_f16_e32 v26, v26, v45
	v_lshl_add_u64 v[2:3], v[0:1], 2, v[2:3]
	v_pack_b32_f16 v15, v15, v34
	v_sub_f16_e32 v25, v46, v23
	v_sub_f16_e32 v35, v39, v48
	v_add_f16_e32 v23, v23, v46
	global_store_dword v[2:3], v15, off
	v_pack_b32_f16 v15, v26, v36
	global_store_dword v[2:3], v15, off offset:720
	v_pack_b32_f16 v15, v23, v35
	global_store_dword v[2:3], v15, off offset:1440
	v_pack_b32_f16 v15, v19, v24
	v_add_f16_e32 v40, v48, v39
	global_store_dword v[2:3], v15, off offset:2160
	v_pack_b32_f16 v15, v20, v38
	s_movk_i32 s12, 0x1000
	v_add_f16_e32 v52, v61, v37
	global_store_dword v[2:3], v15, off offset:2880
	v_pack_b32_f16 v15, v25, v40
	v_add_co_u32_e32 v24, vcc, s12, v2
	global_store_dword v[2:3], v15, off offset:3600
	v_pack_b32_f16 v15, v54, v52
	v_addc_co_u32_e32 v25, vcc, 0, v3, vcc
	global_store_dword v[24:25], v15, off offset:224
	v_pack_b32_f16 v15, v27, v41
	global_store_dword v[2:3], v15, off offset:252
	v_pack_b32_f16 v15, v33, v31
	v_pack_b32_f16 v5, v5, v42
	global_store_dword v[2:3], v15, off offset:972
	v_pack_b32_f16 v15, v28, v32
	global_store_dword v[2:3], v5, off offset:3132
	;; [unrolled: 2-line block ×5, first 2 shown]
	global_store_dword v[24:25], v5, off offset:476
	s_and_b64 exec, exec, s[0:1]
	s_cbranch_execz .LBB0_34
; %bb.33:
	v_subrev_u32_e32 v0, 54, v0
	v_cndmask_b32_e64 v0, v0, v4, s[0:1]
	v_mul_i32_i24_e32 v0, 6, v0
	v_lshl_add_u64 v[0:1], v[0:1], 2, s[4:5]
	global_load_dwordx4 v[24:27], v[0:1], off offset:712
	global_load_dwordx2 v[4:5], v[0:1], off offset:728
	s_waitcnt vmcnt(1)
	v_mul_f16_sdwa v0, v16, v24 dst_sel:DWORD dst_unused:UNUSED_PAD src0_sel:DWORD src1_sel:WORD_1
	v_mul_f16_sdwa v1, v9, v24 dst_sel:DWORD dst_unused:UNUSED_PAD src0_sel:DWORD src1_sel:WORD_1
	;; [unrolled: 1-line block ×4, first 2 shown]
	s_waitcnt vmcnt(0)
	v_mul_f16_sdwa v30, v18, v4 dst_sel:DWORD dst_unused:UNUSED_PAD src0_sel:DWORD src1_sel:WORD_1
	v_mul_f16_sdwa v31, v11, v4 dst_sel:DWORD dst_unused:UNUSED_PAD src0_sel:DWORD src1_sel:WORD_1
	;; [unrolled: 1-line block ×8, first 2 shown]
	v_fma_f16 v0, v9, v24, v0
	v_fma_f16 v1, v16, v24, -v1
	v_fma_f16 v9, v10, v25, v15
	v_fma_f16 v10, v17, v25, -v19
	;; [unrolled: 2-line block ×6, first 2 shown]
	v_add_f16_e32 v8, v0, v7
	v_add_f16_e32 v17, v1, v5
	v_sub_f16_e32 v0, v0, v7
	v_sub_f16_e32 v1, v1, v5
	v_add_f16_e32 v5, v9, v11
	v_add_f16_e32 v7, v10, v4
	v_sub_f16_e32 v9, v9, v11
	v_sub_f16_e32 v4, v10, v4
	v_add_f16_e32 v10, v12, v13
	v_add_f16_e32 v11, v15, v16
	v_sub_f16_e32 v12, v13, v12
	v_sub_f16_e32 v13, v16, v15
	v_add_f16_e32 v15, v5, v8
	v_add_f16_e32 v16, v7, v17
	v_sub_f16_e32 v18, v5, v8
	v_sub_f16_e32 v19, v7, v17
	v_sub_f16_e32 v8, v8, v10
	v_sub_f16_e32 v17, v17, v11
	;; [unrolled: 1-line block ×4, first 2 shown]
	v_add_f16_e32 v20, v12, v9
	v_add_f16_e32 v21, v13, v4
	v_sub_f16_e32 v22, v12, v9
	v_sub_f16_e32 v23, v13, v4
	v_add_f16_e32 v10, v10, v15
	v_add_f16_e32 v11, v11, v16
	v_sub_f16_e32 v12, v0, v12
	v_sub_f16_e32 v13, v1, v13
	v_sub_f16_e32 v9, v9, v0
	v_sub_f16_e32 v4, v4, v1
	v_add_f16_e32 v0, v20, v0
	v_add_f16_e32 v1, v21, v1
	v_mul_f16_e32 v8, 0x3a52, v8
	v_mul_f16_e32 v15, 0x3a52, v17
	;; [unrolled: 1-line block ×6, first 2 shown]
	v_add_f16_e32 v6, v6, v10
	v_add_f16_e32 v14, v14, v11
	v_mul_f16_e32 v22, 0xbb00, v9
	v_mul_f16_e32 v23, 0xbb00, v4
	v_fma_f16 v5, v5, s7, v8
	v_fma_f16 v7, v7, s7, v15
	v_fma_f16 v16, v18, s11, -v16
	v_fma_f16 v17, v19, s11, -v17
	;; [unrolled: 1-line block ×4, first 2 shown]
	v_fma_f16 v18, v12, s3, v20
	v_fma_f16 v19, v13, s3, v21
	;; [unrolled: 1-line block ×4, first 2 shown]
	v_fma_f16 v9, v9, s8, -v20
	v_fma_f16 v4, v4, s8, -v21
	;; [unrolled: 1-line block ×4, first 2 shown]
	v_add_f16_e32 v5, v5, v10
	v_add_f16_e32 v7, v7, v11
	;; [unrolled: 1-line block ×6, first 2 shown]
	v_fma_f16 v11, v0, s2, v18
	v_fma_f16 v15, v1, s2, v19
	;; [unrolled: 1-line block ×6, first 2 shown]
	v_add_f16_e32 v12, v15, v5
	v_sub_f16_e32 v13, v7, v11
	v_pack_b32_f16 v6, v6, v14
	v_add_f16_e32 v18, v1, v8
	v_sub_f16_e32 v19, v10, v0
	v_sub_f16_e32 v20, v16, v4
	v_add_f16_e32 v21, v9, v17
	v_add_f16_e32 v4, v4, v16
	v_sub_f16_e32 v9, v17, v9
	global_store_dword v[2:3], v6, off offset:504
	v_pack_b32_f16 v6, v12, v13
	v_sub_f16_e32 v1, v8, v1
	v_add_f16_e32 v0, v0, v10
	global_store_dword v[2:3], v6, off offset:1224
	v_pack_b32_f16 v6, v18, v19
	v_pack_b32_f16 v4, v4, v9
	v_sub_f16_e32 v5, v5, v15
	v_add_f16_e32 v7, v11, v7
	global_store_dword v[2:3], v6, off offset:1944
	v_pack_b32_f16 v6, v20, v21
	global_store_dword v[2:3], v4, off offset:3384
	v_pack_b32_f16 v4, v1, v0
	v_add_co_u32_e32 v0, vcc, 0x1000, v2
	global_store_dword v[2:3], v6, off offset:2664
	s_nop 0
	v_addc_co_u32_e32 v1, vcc, 0, v3, vcc
	v_pack_b32_f16 v2, v5, v7
	global_store_dword v[0:1], v4, off offset:8
	global_store_dword v[0:1], v2, off offset:728
.LBB0_34:
	s_endpgm
	.section	.rodata,"a",@progbits
	.p2align	6, 0x0
	.amdhsa_kernel fft_rtc_back_len1260_factors_2_2_3_3_5_7_wgs_63_tpt_63_halfLds_half_ip_CI_unitstride_sbrr_dirReg
		.amdhsa_group_segment_fixed_size 0
		.amdhsa_private_segment_fixed_size 0
		.amdhsa_kernarg_size 88
		.amdhsa_user_sgpr_count 2
		.amdhsa_user_sgpr_dispatch_ptr 0
		.amdhsa_user_sgpr_queue_ptr 0
		.amdhsa_user_sgpr_kernarg_segment_ptr 1
		.amdhsa_user_sgpr_dispatch_id 0
		.amdhsa_user_sgpr_kernarg_preload_length 0
		.amdhsa_user_sgpr_kernarg_preload_offset 0
		.amdhsa_user_sgpr_private_segment_size 0
		.amdhsa_uses_dynamic_stack 0
		.amdhsa_enable_private_segment 0
		.amdhsa_system_sgpr_workgroup_id_x 1
		.amdhsa_system_sgpr_workgroup_id_y 0
		.amdhsa_system_sgpr_workgroup_id_z 0
		.amdhsa_system_sgpr_workgroup_info 0
		.amdhsa_system_vgpr_workitem_id 0
		.amdhsa_next_free_vgpr 105
		.amdhsa_next_free_sgpr 22
		.amdhsa_accum_offset 108
		.amdhsa_reserve_vcc 1
		.amdhsa_float_round_mode_32 0
		.amdhsa_float_round_mode_16_64 0
		.amdhsa_float_denorm_mode_32 3
		.amdhsa_float_denorm_mode_16_64 3
		.amdhsa_dx10_clamp 1
		.amdhsa_ieee_mode 1
		.amdhsa_fp16_overflow 0
		.amdhsa_tg_split 0
		.amdhsa_exception_fp_ieee_invalid_op 0
		.amdhsa_exception_fp_denorm_src 0
		.amdhsa_exception_fp_ieee_div_zero 0
		.amdhsa_exception_fp_ieee_overflow 0
		.amdhsa_exception_fp_ieee_underflow 0
		.amdhsa_exception_fp_ieee_inexact 0
		.amdhsa_exception_int_div_zero 0
	.end_amdhsa_kernel
	.text
.Lfunc_end0:
	.size	fft_rtc_back_len1260_factors_2_2_3_3_5_7_wgs_63_tpt_63_halfLds_half_ip_CI_unitstride_sbrr_dirReg, .Lfunc_end0-fft_rtc_back_len1260_factors_2_2_3_3_5_7_wgs_63_tpt_63_halfLds_half_ip_CI_unitstride_sbrr_dirReg
                                        ; -- End function
	.section	.AMDGPU.csdata,"",@progbits
; Kernel info:
; codeLenInByte = 13856
; NumSgprs: 28
; NumVgprs: 105
; NumAgprs: 0
; TotalNumVgprs: 105
; ScratchSize: 0
; MemoryBound: 0
; FloatMode: 240
; IeeeMode: 1
; LDSByteSize: 0 bytes/workgroup (compile time only)
; SGPRBlocks: 3
; VGPRBlocks: 13
; NumSGPRsForWavesPerEU: 28
; NumVGPRsForWavesPerEU: 105
; AccumOffset: 108
; Occupancy: 4
; WaveLimiterHint : 1
; COMPUTE_PGM_RSRC2:SCRATCH_EN: 0
; COMPUTE_PGM_RSRC2:USER_SGPR: 2
; COMPUTE_PGM_RSRC2:TRAP_HANDLER: 0
; COMPUTE_PGM_RSRC2:TGID_X_EN: 1
; COMPUTE_PGM_RSRC2:TGID_Y_EN: 0
; COMPUTE_PGM_RSRC2:TGID_Z_EN: 0
; COMPUTE_PGM_RSRC2:TIDIG_COMP_CNT: 0
; COMPUTE_PGM_RSRC3_GFX90A:ACCUM_OFFSET: 26
; COMPUTE_PGM_RSRC3_GFX90A:TG_SPLIT: 0
	.text
	.p2alignl 6, 3212836864
	.fill 256, 4, 3212836864
	.type	__hip_cuid_16c277432797d2cd,@object ; @__hip_cuid_16c277432797d2cd
	.section	.bss,"aw",@nobits
	.globl	__hip_cuid_16c277432797d2cd
__hip_cuid_16c277432797d2cd:
	.byte	0                               ; 0x0
	.size	__hip_cuid_16c277432797d2cd, 1

	.ident	"AMD clang version 19.0.0git (https://github.com/RadeonOpenCompute/llvm-project roc-6.4.0 25133 c7fe45cf4b819c5991fe208aaa96edf142730f1d)"
	.section	".note.GNU-stack","",@progbits
	.addrsig
	.addrsig_sym __hip_cuid_16c277432797d2cd
	.amdgpu_metadata
---
amdhsa.kernels:
  - .agpr_count:     0
    .args:
      - .actual_access:  read_only
        .address_space:  global
        .offset:         0
        .size:           8
        .value_kind:     global_buffer
      - .offset:         8
        .size:           8
        .value_kind:     by_value
      - .actual_access:  read_only
        .address_space:  global
        .offset:         16
        .size:           8
        .value_kind:     global_buffer
      - .actual_access:  read_only
        .address_space:  global
        .offset:         24
        .size:           8
        .value_kind:     global_buffer
      - .offset:         32
        .size:           8
        .value_kind:     by_value
      - .actual_access:  read_only
        .address_space:  global
        .offset:         40
        .size:           8
        .value_kind:     global_buffer
      - .actual_access:  read_only
        .address_space:  global
        .offset:         48
        .size:           8
        .value_kind:     global_buffer
      - .offset:         56
        .size:           4
        .value_kind:     by_value
      - .actual_access:  read_only
        .address_space:  global
        .offset:         64
        .size:           8
        .value_kind:     global_buffer
      - .actual_access:  read_only
        .address_space:  global
        .offset:         72
        .size:           8
        .value_kind:     global_buffer
      - .address_space:  global
        .offset:         80
        .size:           8
        .value_kind:     global_buffer
    .group_segment_fixed_size: 0
    .kernarg_segment_align: 8
    .kernarg_segment_size: 88
    .language:       OpenCL C
    .language_version:
      - 2
      - 0
    .max_flat_workgroup_size: 63
    .name:           fft_rtc_back_len1260_factors_2_2_3_3_5_7_wgs_63_tpt_63_halfLds_half_ip_CI_unitstride_sbrr_dirReg
    .private_segment_fixed_size: 0
    .sgpr_count:     28
    .sgpr_spill_count: 0
    .symbol:         fft_rtc_back_len1260_factors_2_2_3_3_5_7_wgs_63_tpt_63_halfLds_half_ip_CI_unitstride_sbrr_dirReg.kd
    .uniform_work_group_size: 1
    .uses_dynamic_stack: false
    .vgpr_count:     105
    .vgpr_spill_count: 0
    .wavefront_size: 64
amdhsa.target:   amdgcn-amd-amdhsa--gfx950
amdhsa.version:
  - 1
  - 2
...

	.end_amdgpu_metadata
